;; amdgpu-corpus repo=ROCm/rocFFT kind=compiled arch=gfx1100 opt=O3
	.text
	.amdgcn_target "amdgcn-amd-amdhsa--gfx1100"
	.amdhsa_code_object_version 6
	.protected	fft_rtc_back_len2000_factors_5_5_5_16_wgs_125_tpt_125_halfLds_dp_ip_CI_sbrr_dirReg ; -- Begin function fft_rtc_back_len2000_factors_5_5_5_16_wgs_125_tpt_125_halfLds_dp_ip_CI_sbrr_dirReg
	.globl	fft_rtc_back_len2000_factors_5_5_5_16_wgs_125_tpt_125_halfLds_dp_ip_CI_sbrr_dirReg
	.p2align	8
	.type	fft_rtc_back_len2000_factors_5_5_5_16_wgs_125_tpt_125_halfLds_dp_ip_CI_sbrr_dirReg,@function
fft_rtc_back_len2000_factors_5_5_5_16_wgs_125_tpt_125_halfLds_dp_ip_CI_sbrr_dirReg: ; @fft_rtc_back_len2000_factors_5_5_5_16_wgs_125_tpt_125_halfLds_dp_ip_CI_sbrr_dirReg
; %bb.0:
	s_clause 0x2
	s_load_b64 s[12:13], s[0:1], 0x18
	s_load_b128 s[4:7], s[0:1], 0x0
	s_load_b64 s[10:11], s[0:1], 0x50
	v_mul_u32_u24_e32 v1, 0x20d, v0
	v_mov_b32_e32 v3, 0
	v_mov_b32_e32 v4, 0
	s_delay_alu instid0(VALU_DEP_3) | instskip(SKIP_1) | instid1(VALU_DEP_1)
	v_lshrrev_b32_e32 v2, 16, v1
	v_mov_b32_e32 v1, 0
	v_dual_mov_b32 v6, v1 :: v_dual_add_nc_u32 v5, s15, v2
	s_waitcnt lgkmcnt(0)
	s_load_b64 s[8:9], s[12:13], 0x0
	v_cmp_lt_u64_e64 s2, s[6:7], 2
	s_delay_alu instid0(VALU_DEP_1)
	s_and_b32 vcc_lo, exec_lo, s2
	s_cbranch_vccnz .LBB0_8
; %bb.1:
	s_load_b64 s[2:3], s[0:1], 0x10
	v_mov_b32_e32 v3, 0
	s_add_u32 s14, s12, 8
	v_mov_b32_e32 v4, 0
	s_addc_u32 s15, s13, 0
	s_mov_b64 s[18:19], 1
	s_waitcnt lgkmcnt(0)
	s_add_u32 s16, s2, 8
	s_addc_u32 s17, s3, 0
.LBB0_2:                                ; =>This Inner Loop Header: Depth=1
	s_load_b64 s[20:21], s[16:17], 0x0
                                        ; implicit-def: $vgpr7_vgpr8
	s_mov_b32 s2, exec_lo
	s_waitcnt lgkmcnt(0)
	v_or_b32_e32 v2, s21, v6
	s_delay_alu instid0(VALU_DEP_1)
	v_cmpx_ne_u64_e32 0, v[1:2]
	s_xor_b32 s3, exec_lo, s2
	s_cbranch_execz .LBB0_4
; %bb.3:                                ;   in Loop: Header=BB0_2 Depth=1
	v_cvt_f32_u32_e32 v2, s20
	v_cvt_f32_u32_e32 v7, s21
	s_sub_u32 s2, 0, s20
	s_subb_u32 s22, 0, s21
	s_delay_alu instid0(VALU_DEP_1) | instskip(NEXT) | instid1(VALU_DEP_1)
	v_fmac_f32_e32 v2, 0x4f800000, v7
	v_rcp_f32_e32 v2, v2
	s_waitcnt_depctr 0xfff
	v_mul_f32_e32 v2, 0x5f7ffffc, v2
	s_delay_alu instid0(VALU_DEP_1) | instskip(NEXT) | instid1(VALU_DEP_1)
	v_mul_f32_e32 v7, 0x2f800000, v2
	v_trunc_f32_e32 v7, v7
	s_delay_alu instid0(VALU_DEP_1) | instskip(SKIP_1) | instid1(VALU_DEP_2)
	v_fmac_f32_e32 v2, 0xcf800000, v7
	v_cvt_u32_f32_e32 v7, v7
	v_cvt_u32_f32_e32 v2, v2
	s_delay_alu instid0(VALU_DEP_2) | instskip(NEXT) | instid1(VALU_DEP_2)
	v_mul_lo_u32 v8, s2, v7
	v_mul_hi_u32 v9, s2, v2
	v_mul_lo_u32 v10, s22, v2
	s_delay_alu instid0(VALU_DEP_2) | instskip(SKIP_1) | instid1(VALU_DEP_2)
	v_add_nc_u32_e32 v8, v9, v8
	v_mul_lo_u32 v9, s2, v2
	v_add_nc_u32_e32 v8, v8, v10
	s_delay_alu instid0(VALU_DEP_2) | instskip(NEXT) | instid1(VALU_DEP_2)
	v_mul_hi_u32 v10, v2, v9
	v_mul_lo_u32 v11, v2, v8
	v_mul_hi_u32 v12, v2, v8
	v_mul_hi_u32 v13, v7, v9
	v_mul_lo_u32 v9, v7, v9
	v_mul_hi_u32 v14, v7, v8
	v_mul_lo_u32 v8, v7, v8
	v_add_co_u32 v10, vcc_lo, v10, v11
	v_add_co_ci_u32_e32 v11, vcc_lo, 0, v12, vcc_lo
	s_delay_alu instid0(VALU_DEP_2) | instskip(NEXT) | instid1(VALU_DEP_2)
	v_add_co_u32 v9, vcc_lo, v10, v9
	v_add_co_ci_u32_e32 v9, vcc_lo, v11, v13, vcc_lo
	v_add_co_ci_u32_e32 v10, vcc_lo, 0, v14, vcc_lo
	s_delay_alu instid0(VALU_DEP_2) | instskip(NEXT) | instid1(VALU_DEP_2)
	v_add_co_u32 v8, vcc_lo, v9, v8
	v_add_co_ci_u32_e32 v9, vcc_lo, 0, v10, vcc_lo
	s_delay_alu instid0(VALU_DEP_2) | instskip(NEXT) | instid1(VALU_DEP_2)
	v_add_co_u32 v2, vcc_lo, v2, v8
	v_add_co_ci_u32_e32 v7, vcc_lo, v7, v9, vcc_lo
	s_delay_alu instid0(VALU_DEP_2) | instskip(SKIP_1) | instid1(VALU_DEP_3)
	v_mul_hi_u32 v8, s2, v2
	v_mul_lo_u32 v10, s22, v2
	v_mul_lo_u32 v9, s2, v7
	s_delay_alu instid0(VALU_DEP_1) | instskip(SKIP_1) | instid1(VALU_DEP_2)
	v_add_nc_u32_e32 v8, v8, v9
	v_mul_lo_u32 v9, s2, v2
	v_add_nc_u32_e32 v8, v8, v10
	s_delay_alu instid0(VALU_DEP_2) | instskip(NEXT) | instid1(VALU_DEP_2)
	v_mul_hi_u32 v10, v2, v9
	v_mul_lo_u32 v11, v2, v8
	v_mul_hi_u32 v12, v2, v8
	v_mul_hi_u32 v13, v7, v9
	v_mul_lo_u32 v9, v7, v9
	v_mul_hi_u32 v14, v7, v8
	v_mul_lo_u32 v8, v7, v8
	v_add_co_u32 v10, vcc_lo, v10, v11
	v_add_co_ci_u32_e32 v11, vcc_lo, 0, v12, vcc_lo
	s_delay_alu instid0(VALU_DEP_2) | instskip(NEXT) | instid1(VALU_DEP_2)
	v_add_co_u32 v9, vcc_lo, v10, v9
	v_add_co_ci_u32_e32 v9, vcc_lo, v11, v13, vcc_lo
	v_add_co_ci_u32_e32 v10, vcc_lo, 0, v14, vcc_lo
	s_delay_alu instid0(VALU_DEP_2) | instskip(NEXT) | instid1(VALU_DEP_2)
	v_add_co_u32 v8, vcc_lo, v9, v8
	v_add_co_ci_u32_e32 v9, vcc_lo, 0, v10, vcc_lo
	s_delay_alu instid0(VALU_DEP_2) | instskip(NEXT) | instid1(VALU_DEP_2)
	v_add_co_u32 v2, vcc_lo, v2, v8
	v_add_co_ci_u32_e32 v13, vcc_lo, v7, v9, vcc_lo
	s_delay_alu instid0(VALU_DEP_2) | instskip(SKIP_1) | instid1(VALU_DEP_3)
	v_mul_hi_u32 v14, v5, v2
	v_mad_u64_u32 v[9:10], null, v6, v2, 0
	v_mad_u64_u32 v[7:8], null, v5, v13, 0
	;; [unrolled: 1-line block ×3, first 2 shown]
	s_delay_alu instid0(VALU_DEP_2) | instskip(NEXT) | instid1(VALU_DEP_3)
	v_add_co_u32 v2, vcc_lo, v14, v7
	v_add_co_ci_u32_e32 v7, vcc_lo, 0, v8, vcc_lo
	s_delay_alu instid0(VALU_DEP_2) | instskip(NEXT) | instid1(VALU_DEP_2)
	v_add_co_u32 v2, vcc_lo, v2, v9
	v_add_co_ci_u32_e32 v2, vcc_lo, v7, v10, vcc_lo
	v_add_co_ci_u32_e32 v7, vcc_lo, 0, v12, vcc_lo
	s_delay_alu instid0(VALU_DEP_2) | instskip(NEXT) | instid1(VALU_DEP_2)
	v_add_co_u32 v2, vcc_lo, v2, v11
	v_add_co_ci_u32_e32 v9, vcc_lo, 0, v7, vcc_lo
	s_delay_alu instid0(VALU_DEP_2) | instskip(SKIP_1) | instid1(VALU_DEP_3)
	v_mul_lo_u32 v10, s21, v2
	v_mad_u64_u32 v[7:8], null, s20, v2, 0
	v_mul_lo_u32 v11, s20, v9
	s_delay_alu instid0(VALU_DEP_2) | instskip(NEXT) | instid1(VALU_DEP_2)
	v_sub_co_u32 v7, vcc_lo, v5, v7
	v_add3_u32 v8, v8, v11, v10
	s_delay_alu instid0(VALU_DEP_1) | instskip(NEXT) | instid1(VALU_DEP_1)
	v_sub_nc_u32_e32 v10, v6, v8
	v_subrev_co_ci_u32_e64 v10, s2, s21, v10, vcc_lo
	v_add_co_u32 v11, s2, v2, 2
	s_delay_alu instid0(VALU_DEP_1) | instskip(SKIP_3) | instid1(VALU_DEP_3)
	v_add_co_ci_u32_e64 v12, s2, 0, v9, s2
	v_sub_co_u32 v13, s2, v7, s20
	v_sub_co_ci_u32_e32 v8, vcc_lo, v6, v8, vcc_lo
	v_subrev_co_ci_u32_e64 v10, s2, 0, v10, s2
	v_cmp_le_u32_e32 vcc_lo, s20, v13
	s_delay_alu instid0(VALU_DEP_3) | instskip(SKIP_1) | instid1(VALU_DEP_4)
	v_cmp_eq_u32_e64 s2, s21, v8
	v_cndmask_b32_e64 v13, 0, -1, vcc_lo
	v_cmp_le_u32_e32 vcc_lo, s21, v10
	v_cndmask_b32_e64 v14, 0, -1, vcc_lo
	v_cmp_le_u32_e32 vcc_lo, s20, v7
	;; [unrolled: 2-line block ×3, first 2 shown]
	v_cndmask_b32_e64 v15, 0, -1, vcc_lo
	v_cmp_eq_u32_e32 vcc_lo, s21, v10
	s_delay_alu instid0(VALU_DEP_2) | instskip(SKIP_3) | instid1(VALU_DEP_3)
	v_cndmask_b32_e64 v7, v15, v7, s2
	v_cndmask_b32_e32 v10, v14, v13, vcc_lo
	v_add_co_u32 v13, vcc_lo, v2, 1
	v_add_co_ci_u32_e32 v14, vcc_lo, 0, v9, vcc_lo
	v_cmp_ne_u32_e32 vcc_lo, 0, v10
	s_delay_alu instid0(VALU_DEP_2) | instskip(NEXT) | instid1(VALU_DEP_4)
	v_cndmask_b32_e32 v8, v14, v12, vcc_lo
	v_cndmask_b32_e32 v10, v13, v11, vcc_lo
	v_cmp_ne_u32_e32 vcc_lo, 0, v7
	s_delay_alu instid0(VALU_DEP_2)
	v_dual_cndmask_b32 v7, v2, v10 :: v_dual_cndmask_b32 v8, v9, v8
.LBB0_4:                                ;   in Loop: Header=BB0_2 Depth=1
	s_and_not1_saveexec_b32 s2, s3
	s_cbranch_execz .LBB0_6
; %bb.5:                                ;   in Loop: Header=BB0_2 Depth=1
	v_cvt_f32_u32_e32 v2, s20
	s_sub_i32 s3, 0, s20
	s_delay_alu instid0(VALU_DEP_1) | instskip(SKIP_2) | instid1(VALU_DEP_1)
	v_rcp_iflag_f32_e32 v2, v2
	s_waitcnt_depctr 0xfff
	v_mul_f32_e32 v2, 0x4f7ffffe, v2
	v_cvt_u32_f32_e32 v2, v2
	s_delay_alu instid0(VALU_DEP_1) | instskip(NEXT) | instid1(VALU_DEP_1)
	v_mul_lo_u32 v7, s3, v2
	v_mul_hi_u32 v7, v2, v7
	s_delay_alu instid0(VALU_DEP_1) | instskip(NEXT) | instid1(VALU_DEP_1)
	v_add_nc_u32_e32 v2, v2, v7
	v_mul_hi_u32 v2, v5, v2
	s_delay_alu instid0(VALU_DEP_1) | instskip(SKIP_1) | instid1(VALU_DEP_2)
	v_mul_lo_u32 v7, v2, s20
	v_add_nc_u32_e32 v8, 1, v2
	v_sub_nc_u32_e32 v7, v5, v7
	s_delay_alu instid0(VALU_DEP_1) | instskip(SKIP_1) | instid1(VALU_DEP_2)
	v_subrev_nc_u32_e32 v9, s20, v7
	v_cmp_le_u32_e32 vcc_lo, s20, v7
	v_dual_cndmask_b32 v7, v7, v9 :: v_dual_cndmask_b32 v2, v2, v8
	s_delay_alu instid0(VALU_DEP_1) | instskip(NEXT) | instid1(VALU_DEP_2)
	v_cmp_le_u32_e32 vcc_lo, s20, v7
	v_add_nc_u32_e32 v8, 1, v2
	s_delay_alu instid0(VALU_DEP_1)
	v_dual_cndmask_b32 v7, v2, v8 :: v_dual_mov_b32 v8, v1
.LBB0_6:                                ;   in Loop: Header=BB0_2 Depth=1
	s_or_b32 exec_lo, exec_lo, s2
	s_load_b64 s[2:3], s[14:15], 0x0
	s_delay_alu instid0(VALU_DEP_1) | instskip(NEXT) | instid1(VALU_DEP_2)
	v_mul_lo_u32 v2, v8, s20
	v_mul_lo_u32 v11, v7, s21
	v_mad_u64_u32 v[9:10], null, v7, s20, 0
	s_add_u32 s18, s18, 1
	s_addc_u32 s19, s19, 0
	s_add_u32 s14, s14, 8
	s_addc_u32 s15, s15, 0
	;; [unrolled: 2-line block ×3, first 2 shown]
	s_delay_alu instid0(VALU_DEP_1) | instskip(SKIP_1) | instid1(VALU_DEP_2)
	v_add3_u32 v2, v10, v11, v2
	v_sub_co_u32 v9, vcc_lo, v5, v9
	v_sub_co_ci_u32_e32 v2, vcc_lo, v6, v2, vcc_lo
	s_waitcnt lgkmcnt(0)
	s_delay_alu instid0(VALU_DEP_2) | instskip(NEXT) | instid1(VALU_DEP_2)
	v_mul_lo_u32 v10, s3, v9
	v_mul_lo_u32 v2, s2, v2
	v_mad_u64_u32 v[5:6], null, s2, v9, v[3:4]
	v_cmp_ge_u64_e64 s2, s[18:19], s[6:7]
	s_delay_alu instid0(VALU_DEP_1) | instskip(NEXT) | instid1(VALU_DEP_2)
	s_and_b32 vcc_lo, exec_lo, s2
	v_add3_u32 v4, v10, v6, v2
	s_delay_alu instid0(VALU_DEP_3)
	v_mov_b32_e32 v3, v5
	s_cbranch_vccnz .LBB0_9
; %bb.7:                                ;   in Loop: Header=BB0_2 Depth=1
	v_dual_mov_b32 v5, v7 :: v_dual_mov_b32 v6, v8
	s_branch .LBB0_2
.LBB0_8:
	v_dual_mov_b32 v8, v6 :: v_dual_mov_b32 v7, v5
.LBB0_9:
	s_lshl_b64 s[2:3], s[6:7], 3
	v_mul_hi_u32 v1, 0x20c49bb, v0
	s_add_u32 s2, s12, s2
	s_addc_u32 s3, s13, s3
	s_load_b64 s[2:3], s[2:3], 0x0
	s_load_b64 s[0:1], s[0:1], 0x20
	s_delay_alu instid0(VALU_DEP_1) | instskip(NEXT) | instid1(VALU_DEP_1)
	v_mul_u32_u24_e32 v5, 0x7d, v1
	v_sub_nc_u32_e32 v123, v0, v5
	s_delay_alu instid0(VALU_DEP_1)
	v_add_nc_u32_e32 v124, 0x7d, v123
	v_add_nc_u32_e32 v125, 0xfa, v123
	s_waitcnt lgkmcnt(0)
	v_mul_lo_u32 v6, s2, v8
	v_mul_lo_u32 v9, s3, v7
	v_mad_u64_u32 v[1:2], null, s2, v7, v[3:4]
	v_cmp_gt_u64_e32 vcc_lo, s[0:1], v[7:8]
	v_cmp_le_u64_e64 s0, s[0:1], v[7:8]
                                        ; implicit-def: $sgpr2
	s_delay_alu instid0(VALU_DEP_3) | instskip(NEXT) | instid1(VALU_DEP_2)
	v_add3_u32 v2, v9, v2, v6
	s_and_saveexec_b32 s1, s0
	s_delay_alu instid0(SALU_CYCLE_1)
	s_xor_b32 s0, exec_lo, s1
; %bb.10:
	v_add_nc_u32_e32 v124, 0x7d, v123
	v_add_nc_u32_e32 v125, 0xfa, v123
	s_mov_b32 s2, 0
; %bb.11:
	s_or_saveexec_b32 s1, s0
	v_lshlrev_b64 v[104:105], 4, v[1:2]
	v_mov_b32_e32 v122, s2
                                        ; implicit-def: $vgpr14_vgpr15
                                        ; implicit-def: $vgpr6_vgpr7
                                        ; implicit-def: $vgpr2_vgpr3
                                        ; implicit-def: $vgpr10_vgpr11
                                        ; implicit-def: $vgpr26_vgpr27
                                        ; implicit-def: $vgpr22_vgpr23
                                        ; implicit-def: $vgpr38_vgpr39
                                        ; implicit-def: $vgpr58_vgpr59
                                        ; implicit-def: $vgpr54_vgpr55
                                        ; implicit-def: $vgpr50_vgpr51
                                        ; implicit-def: $vgpr46_vgpr47
                                        ; implicit-def: $vgpr42_vgpr43
                                        ; implicit-def: $vgpr62_vgpr63
                                        ; implicit-def: $vgpr66_vgpr67
                                        ; implicit-def: $vgpr70_vgpr71
                                        ; implicit-def: $vgpr74_vgpr75
                                        ; implicit-def: $vgpr78_vgpr79
                                        ; implicit-def: $vgpr34_vgpr35
                                        ; implicit-def: $vgpr30_vgpr31
                                        ; implicit-def: $vgpr18_vgpr19
	s_xor_b32 exec_lo, exec_lo, s1
	s_cbranch_execz .LBB0_15
; %bb.12:
	v_add_nc_u32_e32 v11, 0x190, v123
	v_mad_u64_u32 v[0:1], null, s8, v123, 0
	v_add_nc_u32_e32 v13, 0x4b0, v123
	v_add_co_u32 v62, s0, s10, v104
	s_delay_alu instid0(VALU_DEP_4) | instskip(SKIP_1) | instid1(VALU_DEP_4)
	v_mad_u64_u32 v[2:3], null, s8, v11, 0
	v_add_nc_u32_e32 v12, 0x320, v123
	v_mad_u64_u32 v[7:8], null, s8, v13, 0
	v_add_co_ci_u32_e64 v63, s0, s11, v105, s0
	v_mad_u64_u32 v[20:21], null, s8, v124, 0
	v_mad_u64_u32 v[4:5], null, s9, v123, v[1:2]
	v_mov_b32_e32 v1, v3
	v_mad_u64_u32 v[5:6], null, s8, v12, 0
	v_add_nc_u32_e32 v26, 0x20d, v123
	v_add_nc_u32_e32 v14, 0x640, v123
	s_delay_alu instid0(VALU_DEP_4) | instskip(SKIP_4) | instid1(VALU_DEP_4)
	v_mad_u64_u32 v[9:10], null, s9, v11, v[1:2]
	v_mov_b32_e32 v1, v4
	v_mad_u64_u32 v[40:41], null, s8, v125, 0
	v_mov_b32_e32 v4, v6
	v_mov_b32_e32 v6, v8
	v_lshlrev_b64 v[0:1], 4, v[0:1]
	v_mov_b32_e32 v3, v9
	v_add_nc_u32_e32 v39, 0x28a, v123
	v_mad_u64_u32 v[8:9], null, s9, v12, v[4:5]
	v_mad_u64_u32 v[9:10], null, s9, v13, v[6:7]
	;; [unrolled: 1-line block ×3, first 2 shown]
	v_add_co_u32 v0, s0, v62, v0
	s_delay_alu instid0(VALU_DEP_4) | instskip(SKIP_3) | instid1(VALU_DEP_4)
	v_mov_b32_e32 v6, v8
	v_lshlrev_b64 v[2:3], 4, v[2:3]
	v_dual_mov_b32 v8, v9 :: v_dual_add_nc_u32 v27, 0x39d, v123
	v_mov_b32_e32 v4, v11
	v_lshlrev_b64 v[5:6], 4, v[5:6]
	v_add_co_ci_u32_e64 v1, s0, v63, v1, s0
	v_add_co_u32 v2, s0, v62, v2
	s_delay_alu instid0(VALU_DEP_1) | instskip(SKIP_3) | instid1(VALU_DEP_1)
	v_add_co_ci_u32_e64 v3, s0, v63, v3, s0
	v_lshlrev_b64 v[7:8], 4, v[7:8]
	v_mad_u64_u32 v[11:12], null, s9, v14, v[4:5]
	v_add_co_u32 v4, s0, v62, v5
	v_add_co_ci_u32_e64 v5, s0, v63, v6, s0
	v_dual_mov_b32 v6, v21 :: v_dual_add_nc_u32 v31, 0x6bd, v123
	v_add_co_u32 v22, s0, v62, v7
	s_delay_alu instid0(VALU_DEP_1) | instskip(SKIP_1) | instid1(VALU_DEP_4)
	v_add_co_ci_u32_e64 v23, s0, v63, v8, s0
	v_mad_u64_u32 v[8:9], null, s8, v26, 0
	v_mad_u64_u32 v[24:25], null, s9, v124, v[6:7]
	v_lshlrev_b64 v[10:11], 4, v[10:11]
	s_clause 0x3
	global_load_b128 v[16:19], v[0:1], off
	global_load_b128 v[12:15], v[2:3], off
	;; [unrolled: 1-line block ×4, first 2 shown]
	v_mad_u64_u32 v[22:23], null, s8, v27, 0
	v_mad_u64_u32 v[32:33], null, s8, v31, 0
	v_mov_b32_e32 v21, v24
	v_mad_u64_u32 v[24:25], null, s9, v26, v[9:10]
	v_add_nc_u32_e32 v26, 0x52d, v123
	v_add_co_u32 v10, s0, v62, v10
	s_delay_alu instid0(VALU_DEP_4) | instskip(SKIP_1) | instid1(VALU_DEP_4)
	v_lshlrev_b64 v[20:21], 4, v[20:21]
	v_add_co_ci_u32_e64 v11, s0, v63, v11, s0
	v_mad_u64_u32 v[28:29], null, s8, v26, 0
	v_mov_b32_e32 v9, v24
	v_mad_u64_u32 v[24:25], null, s9, v27, v[23:24]
	v_add_co_u32 v20, s0, v62, v20
	s_delay_alu instid0(VALU_DEP_1)
	v_add_co_ci_u32_e64 v21, s0, v63, v21, s0
	v_mov_b32_e32 v25, v29
	v_lshlrev_b64 v[29:30], 4, v[8:9]
	v_mov_b32_e32 v23, v24
	v_add_nc_u32_e32 v51, 0x41a, v123
	v_mad_u64_u32 v[42:43], null, s8, v39, 0
	v_mad_u64_u32 v[34:35], null, s9, v26, v[25:26]
	s_clause 0x1
	global_load_b128 v[8:11], v[10:11], off
	global_load_b128 v[24:27], v[20:21], off
	v_lshlrev_b64 v[20:21], 4, v[22:23]
	v_mov_b32_e32 v22, v33
	v_add_co_u32 v35, s0, v62, v29
	s_delay_alu instid0(VALU_DEP_1) | instskip(SKIP_2) | instid1(VALU_DEP_1)
	v_add_co_ci_u32_e64 v36, s0, v63, v30, s0
	v_mov_b32_e32 v29, v34
	v_add_co_u32 v20, s0, v62, v20
	v_add_co_ci_u32_e64 v21, s0, v63, v21, s0
	s_delay_alu instid0(VALU_DEP_3)
	v_lshlrev_b64 v[37:38], 4, v[28:29]
	v_mad_u64_u32 v[33:34], null, s9, v31, v[22:23]
	s_clause 0x1
	global_load_b128 v[28:31], v[35:36], off
	global_load_b128 v[20:23], v[20:21], off
	v_mov_b32_e32 v36, v41
	v_mad_u64_u32 v[44:45], null, s8, v51, 0
	v_add_co_u32 v34, s0, v62, v37
	s_delay_alu instid0(VALU_DEP_1) | instskip(NEXT) | instid1(VALU_DEP_4)
	v_add_co_ci_u32_e64 v35, s0, v63, v38, s0
	v_mad_u64_u32 v[37:38], null, s9, v125, v[36:37]
	v_add_nc_u32_e32 v52, 0x5aa, v123
	v_dual_mov_b32 v36, v43 :: v_dual_add_nc_u32 v53, 0x73a, v123
	v_lshlrev_b64 v[32:33], 4, v[32:33]
	s_mov_b32 s2, exec_lo
                                        ; implicit-def: $vgpr76_vgpr77
                                        ; implicit-def: $vgpr72_vgpr73
                                        ; implicit-def: $vgpr68_vgpr69
                                        ; implicit-def: $vgpr64_vgpr65
	s_delay_alu instid0(VALU_DEP_4) | instskip(SKIP_2) | instid1(VALU_DEP_4)
	v_mov_b32_e32 v41, v37
	v_mov_b32_e32 v37, v45
	v_mad_u64_u32 v[46:47], null, s8, v52, 0
	v_add_co_u32 v32, s0, v62, v32
	s_delay_alu instid0(VALU_DEP_3)
	v_mad_u64_u32 v[48:49], null, s9, v39, v[36:37]
	v_mad_u64_u32 v[49:50], null, s9, v51, v[37:38]
	;; [unrolled: 1-line block ×3, first 2 shown]
	v_lshlrev_b64 v[40:41], 4, v[40:41]
	v_add_co_ci_u32_e64 v33, s0, v63, v33, s0
	v_mov_b32_e32 v43, v48
	v_mov_b32_e32 v45, v49
	v_mad_u64_u32 v[48:49], null, s9, v52, v[47:48]
	v_mov_b32_e32 v47, v51
	s_delay_alu instid0(VALU_DEP_4)
	v_lshlrev_b64 v[42:43], 4, v[42:43]
	v_add_co_u32 v40, s0, v62, v40
	v_lshlrev_b64 v[44:45], 4, v[44:45]
	v_add_co_ci_u32_e64 v41, s0, v63, v41, s0
	v_mad_u64_u32 v[51:52], null, s9, v53, v[47:48]
	v_mov_b32_e32 v47, v48
	v_add_co_u32 v42, s0, v62, v42
	s_delay_alu instid0(VALU_DEP_1) | instskip(NEXT) | instid1(VALU_DEP_3)
	v_add_co_ci_u32_e64 v43, s0, v63, v43, s0
	v_lshlrev_b64 v[46:47], 4, v[46:47]
	v_add_co_u32 v44, s0, v62, v44
	v_lshlrev_b64 v[48:49], 4, v[50:51]
	v_add_co_ci_u32_e64 v45, s0, v63, v45, s0
	s_delay_alu instid0(VALU_DEP_4) | instskip(NEXT) | instid1(VALU_DEP_1)
	v_add_co_u32 v46, s0, v62, v46
	v_add_co_ci_u32_e64 v47, s0, v63, v47, s0
	s_delay_alu instid0(VALU_DEP_4) | instskip(NEXT) | instid1(VALU_DEP_1)
	v_add_co_u32 v60, s0, v62, v48
	v_add_co_ci_u32_e64 v61, s0, v63, v49, s0
	s_clause 0x6
	global_load_b128 v[36:39], v[34:35], off
	global_load_b128 v[32:35], v[32:33], off
	;; [unrolled: 1-line block ×7, first 2 shown]
                                        ; implicit-def: $vgpr60_vgpr61
	v_cmpx_gt_u32_e32 25, v123
	s_cbranch_execz .LBB0_14
; %bb.13:
	v_add_nc_u32_e32 v76, 0x497, v123
	v_add_nc_u32_e32 v77, 0x627, v123
	;; [unrolled: 1-line block ×3, first 2 shown]
	s_delay_alu instid0(VALU_DEP_3) | instskip(SKIP_1) | instid1(VALU_DEP_4)
	v_mad_u64_u32 v[66:67], null, s8, v76, 0
	v_add_nc_u32_e32 v72, 0x177, v123
	v_mad_u64_u32 v[68:69], null, s8, v77, 0
	s_delay_alu instid0(VALU_DEP_4) | instskip(NEXT) | instid1(VALU_DEP_3)
	v_mad_u64_u32 v[64:65], null, s8, v75, 0
	v_mad_u64_u32 v[60:61], null, s8, v72, 0
	v_add_nc_u32_e32 v78, 0x7b7, v123
	s_delay_alu instid0(VALU_DEP_3) | instskip(NEXT) | instid1(VALU_DEP_3)
	v_mad_u64_u32 v[73:74], null, s9, v75, v[65:66]
	v_mad_u64_u32 v[70:71], null, s9, v72, v[61:62]
	v_mov_b32_e32 v61, v67
	v_mov_b32_e32 v67, v69
	v_mad_u64_u32 v[71:72], null, s8, v78, 0
	v_mov_b32_e32 v65, v73
	s_delay_alu instid0(VALU_DEP_4) | instskip(SKIP_1) | instid1(VALU_DEP_3)
	v_mad_u64_u32 v[74:75], null, s9, v76, v[61:62]
	v_mov_b32_e32 v61, v70
	v_lshlrev_b64 v[64:65], 4, v[64:65]
	v_mov_b32_e32 v69, v72
	v_mad_u64_u32 v[72:73], null, s9, v77, v[67:68]
	v_mov_b32_e32 v67, v74
	v_lshlrev_b64 v[60:61], 4, v[60:61]
	s_delay_alu instid0(VALU_DEP_4) | instskip(NEXT) | instid1(VALU_DEP_3)
	v_mad_u64_u32 v[73:74], null, s9, v78, v[69:70]
	v_lshlrev_b64 v[66:67], 4, v[66:67]
	v_mov_b32_e32 v69, v72
	s_delay_alu instid0(VALU_DEP_4) | instskip(NEXT) | instid1(VALU_DEP_1)
	v_add_co_u32 v60, s0, v62, v60
	v_add_co_ci_u32_e64 v61, s0, v63, v61, s0
	v_mov_b32_e32 v72, v73
	v_add_co_u32 v64, s0, v62, v64
	v_lshlrev_b64 v[68:69], 4, v[68:69]
	v_add_co_ci_u32_e64 v65, s0, v63, v65, s0
	v_add_co_u32 v66, s0, v62, v66
	v_lshlrev_b64 v[70:71], 4, v[71:72]
	v_add_co_ci_u32_e64 v67, s0, v63, v67, s0
	v_add_co_u32 v80, s0, v62, v68
	s_delay_alu instid0(VALU_DEP_1) | instskip(NEXT) | instid1(VALU_DEP_4)
	v_add_co_ci_u32_e64 v81, s0, v63, v69, s0
	v_add_co_u32 v62, s0, v62, v70
	s_delay_alu instid0(VALU_DEP_1)
	v_add_co_ci_u32_e64 v63, s0, v63, v71, s0
	s_clause 0x4
	global_load_b128 v[76:79], v[60:61], off
	global_load_b128 v[72:75], v[64:65], off
	;; [unrolled: 1-line block ×5, first 2 shown]
.LBB0_14:
	s_or_b32 exec_lo, exec_lo, s2
	v_mov_b32_e32 v122, v123
.LBB0_15:
	s_or_b32 exec_lo, exec_lo, s1
	s_waitcnt vmcnt(10)
	v_add_f64 v[80:81], v[12:13], v[8:9]
	v_add_f64 v[82:83], v[4:5], v[0:1]
	s_waitcnt vmcnt(5)
	v_add_f64 v[84:85], v[32:33], v[28:29]
	v_add_f64 v[86:87], v[20:21], v[36:37]
	;; [unrolled: 3-line block ×3, first 2 shown]
	v_add_f64 v[92:93], v[64:65], v[68:69]
	v_add_f64 v[94:95], v[60:61], v[72:73]
	v_add_f64 v[98:99], v[6:7], -v[2:3]
	v_add_f64 v[100:101], v[12:13], v[16:17]
	v_add_f64 v[102:103], v[24:25], v[28:29]
	;; [unrolled: 1-line block ×4, first 2 shown]
	v_add_f64 v[110:111], v[14:15], -v[10:11]
	v_add_f64 v[112:113], v[30:31], -v[34:35]
	;; [unrolled: 1-line block ×4, first 2 shown]
	s_mov_b32 s0, 0x134454ff
	s_mov_b32 s1, 0xbfee6f0e
	;; [unrolled: 1-line block ×4, first 2 shown]
	v_add_f64 v[96:97], v[12:13], -v[4:5]
	v_add_f64 v[118:119], v[4:5], -v[12:13]
	;; [unrolled: 1-line block ×15, first 2 shown]
	v_fma_f64 v[80:81], v[80:81], -0.5, v[16:17]
	v_fma_f64 v[16:17], v[82:83], -0.5, v[16:17]
	v_add_f64 v[82:83], v[22:23], -v[38:39]
	v_fma_f64 v[84:85], v[84:85], -0.5, v[24:25]
	v_fma_f64 v[24:25], v[86:87], -0.5, v[24:25]
	v_add_f64 v[86:87], v[50:51], -v[46:47]
	;; [unrolled: 3-line block ×4, first 2 shown]
	v_add_f64 v[100:101], v[4:5], v[100:101]
	v_add_f64 v[102:103], v[20:21], v[102:103]
	;; [unrolled: 1-line block ×4, first 2 shown]
	v_fma_f64 v[150:151], v[98:99], s[2:3], v[80:81]
	v_fma_f64 v[80:81], v[98:99], s[0:1], v[80:81]
	;; [unrolled: 1-line block ×16, first 2 shown]
	s_mov_b32 s0, 0x4755a5e
	s_mov_b32 s1, 0xbfe2cf23
	;; [unrolled: 1-line block ×4, first 2 shown]
	v_add_f64 v[94:95], v[96:97], v[94:95]
	v_add_f64 v[96:97], v[118:119], v[120:121]
	;; [unrolled: 1-line block ×12, first 2 shown]
	v_fma_f64 v[134:135], v[110:111], s[0:1], v[150:151]
	v_fma_f64 v[80:81], v[110:111], s[2:3], v[80:81]
	;; [unrolled: 1-line block ×16, first 2 shown]
	s_mov_b32 s0, 0x372fe950
	s_mov_b32 s1, 0x3fd3c6ef
	v_add_f64 v[90:91], v[8:9], v[100:101]
	v_add_f64 v[100:101], v[32:33], v[102:103]
	;; [unrolled: 1-line block ×4, first 2 shown]
	v_fma_f64 v[106:107], v[96:97], s[0:1], v[134:135]
	v_fma_f64 v[80:81], v[96:97], s[0:1], v[80:81]
	;; [unrolled: 1-line block ×16, first 2 shown]
	v_mad_u32_u24 v16, v123, 40, 0
	v_mad_i32_i24 v119, v124, 40, 0
	v_mad_i32_i24 v118, v125, 40, 0
	v_cmp_gt_u32_e64 s0, 25, v123
	ds_store_2addr_b64 v16, v[90:91], v[96:97] offset1:1
	ds_store_2addr_b64 v16, v[106:107], v[80:81] offset0:2 offset1:3
	ds_store_b64 v16, v[94:95] offset:32
	ds_store_2addr_b64 v119, v[100:101], v[108:109] offset1:1
	ds_store_2addr_b64 v119, v[98:99], v[84:85] offset0:2 offset1:3
	ds_store_b64 v119, v[24:25] offset:32
	;; [unrolled: 3-line block ×3, first 2 shown]
	s_and_saveexec_b32 s1, s0
	s_cbranch_execz .LBB0_17
; %bb.16:
	v_add_nc_u32_e32 v17, 0x3aa8, v16
	v_add_nc_u32_e32 v24, 0x3a98, v16
	ds_store_2addr_b64 v17, v[114:115], v[112:113] offset1:1
	ds_store_2addr_b64 v24, v[56:57], v[116:117] offset1:1
	ds_store_b64 v16, v[110:111] offset:15032
.LBB0_17:
	s_or_b32 exec_lo, exec_lo, s1
	v_lshlrev_b32_e32 v17, 5, v123
	v_lshlrev_b32_e32 v120, 5, v125
	s_waitcnt lgkmcnt(0)
	s_barrier
	buffer_gl0_inv
	v_sub_nc_u32_e32 v126, v16, v17
	v_lshlrev_b32_e32 v17, 5, v124
	s_delay_alu instid0(VALU_DEP_2)
	v_add_nc_u32_e32 v24, 0xc00, v126
	v_add_nc_u32_e32 v25, 0x1400, v126
	;; [unrolled: 1-line block ×6, first 2 shown]
	ds_load_2addr_b64 v[100:103], v24 offset0:16 offset1:141
	ds_load_2addr_b64 v[88:91], v25 offset0:10 offset1:160
	;; [unrolled: 1-line block ×4, first 2 shown]
	v_sub_nc_u32_e32 v24, v119, v17
	v_sub_nc_u32_e32 v25, v118, v120
	ds_load_2addr_b64 v[92:95], v84 offset0:29 offset1:154
	ds_load_2addr_b64 v[84:87], v85 offset0:61 offset1:186
	ds_load_b64 v[108:109], v126
	ds_load_b64 v[106:107], v24
	;; [unrolled: 1-line block ×3, first 2 shown]
	s_and_saveexec_b32 s1, s0
	s_cbranch_execz .LBB0_19
; %bb.18:
	ds_load_b64 v[56:57], v126 offset:3000
	ds_load_b64 v[116:117], v126 offset:6200
	;; [unrolled: 1-line block ×5, first 2 shown]
.LBB0_19:
	s_or_b32 exec_lo, exec_lo, s1
	v_add_f64 v[24:25], v[6:7], v[2:3]
	v_add_f64 v[127:128], v[14:15], v[10:11]
	;; [unrolled: 1-line block ×9, first 2 shown]
	v_add_f64 v[8:9], v[12:13], -v[8:9]
	v_add_f64 v[0:1], v[4:5], -v[0:1]
	v_add_f64 v[4:5], v[26:27], v[30:31]
	v_add_f64 v[12:13], v[58:59], v[54:55]
	;; [unrolled: 1-line block ×3, first 2 shown]
	v_add_f64 v[28:29], v[28:29], -v[32:33]
	v_add_f64 v[20:21], v[20:21], -v[36:37]
	;; [unrolled: 1-line block ×5, first 2 shown]
	s_mov_b32 s2, 0x134454ff
	s_mov_b32 s3, 0x3fee6f0e
	;; [unrolled: 1-line block ×4, first 2 shown]
	v_add_f64 v[72:73], v[10:11], -v[2:3]
	v_add_f64 v[145:146], v[62:63], -v[66:67]
	;; [unrolled: 1-line block ×3, first 2 shown]
	s_waitcnt lgkmcnt(0)
	s_barrier
	buffer_gl0_inv
	v_fma_f64 v[24:25], v[24:25], -0.5, v[18:19]
	v_fma_f64 v[18:19], v[127:128], -0.5, v[18:19]
	v_fma_f64 v[32:33], v[129:130], -0.5, v[26:27]
	v_fma_f64 v[26:27], v[131:132], -0.5, v[26:27]
	v_fma_f64 v[44:45], v[133:134], -0.5, v[58:59]
	v_fma_f64 v[52:53], v[135:136], -0.5, v[58:59]
	v_add_f64 v[58:59], v[68:69], -v[64:65]
	v_fma_f64 v[60:61], v[137:138], -0.5, v[78:79]
	v_fma_f64 v[64:65], v[139:140], -0.5, v[78:79]
	v_add_f64 v[68:69], v[14:15], -v[6:7]
	v_add_f64 v[14:15], v[6:7], -v[14:15]
	;; [unrolled: 1-line block ×12, first 2 shown]
	v_add_f64 v[6:7], v[6:7], v[141:142]
	v_add_f64 v[4:5], v[22:23], v[4:5]
	;; [unrolled: 1-line block ×4, first 2 shown]
	v_add_f64 v[137:138], v[46:47], -v[42:43]
	v_fma_f64 v[50:51], v[8:9], s[2:3], v[24:25]
	v_fma_f64 v[70:71], v[0:1], s[6:7], v[18:19]
	;; [unrolled: 1-line block ×16, first 2 shown]
	s_mov_b32 s2, 0x4755a5e
	s_mov_b32 s3, 0x3fe2cf23
	;; [unrolled: 1-line block ×4, first 2 shown]
	v_add_f64 v[68:69], v[68:69], v[72:73]
	v_add_f64 v[14:15], v[14:15], v[78:79]
	;; [unrolled: 1-line block ×12, first 2 shown]
	v_add_nc_u32_e32 v129, 0x177, v123
	v_fma_f64 v[22:23], v[0:1], s[2:3], v[50:51]
	v_fma_f64 v[38:39], v[8:9], s[2:3], v[70:71]
	;; [unrolled: 1-line block ×16, first 2 shown]
	s_mov_b32 s2, 0x372fe950
	s_mov_b32 s3, 0x3fd3c6ef
	v_add_f64 v[2:3], v[10:11], v[2:3]
	v_add_f64 v[4:5], v[34:35], v[4:5]
	;; [unrolled: 1-line block ×4, first 2 shown]
	v_fma_f64 v[10:11], v[68:69], s[2:3], v[22:23]
	v_fma_f64 v[22:23], v[14:15], s[2:3], v[38:39]
	v_fma_f64 v[8:9], v[14:15], s[2:3], v[8:9]
	v_fma_f64 v[14:15], v[72:73], s[2:3], v[18:19]
	v_fma_f64 v[18:19], v[72:73], s[2:3], v[20:21]
	v_fma_f64 v[20:21], v[30:31], s[2:3], v[32:33]
	v_fma_f64 v[26:27], v[30:31], s[2:3], v[26:27]
	v_fma_f64 v[28:29], v[78:79], s[2:3], v[28:29]
	v_fma_f64 v[30:31], v[78:79], s[2:3], v[40:41]
	v_fma_f64 v[38:39], v[54:55], s[2:3], v[44:45]
	v_fma_f64 v[36:37], v[54:55], s[2:3], v[36:37]
	v_fma_f64 v[46:47], v[127:128], s[2:3], v[46:47]
	v_fma_f64 v[34:35], v[127:128], s[2:3], v[50:51]
	v_fma_f64 v[40:41], v[74:75], s[2:3], v[52:53]
	v_fma_f64 v[32:33], v[74:75], s[2:3], v[48:49]
	v_fma_f64 v[12:13], v[68:69], s[2:3], v[0:1]
	v_sub_nc_u32_e32 v1, 0, v17
	v_sub_nc_u32_e32 v0, 0, v120
	ds_store_2addr_b64 v16, v[2:3], v[10:11] offset1:1
	ds_store_2addr_b64 v16, v[22:23], v[8:9] offset0:2 offset1:3
	ds_store_b64 v16, v[12:13] offset:32
	ds_store_2addr_b64 v119, v[4:5], v[14:15] offset1:1
	ds_store_2addr_b64 v119, v[20:21], v[26:27] offset0:2 offset1:3
	ds_store_b64 v119, v[18:19] offset:32
	;; [unrolled: 3-line block ×3, first 2 shown]
	s_and_saveexec_b32 s1, s0
	s_cbranch_execz .LBB0_21
; %bb.20:
	v_mad_u32_u24 v2, v129, 40, 0
	ds_store_2addr_b64 v2, v[24:25], v[46:47] offset1:1
	ds_store_2addr_b64 v2, v[40:41], v[32:33] offset0:2 offset1:3
	ds_store_b64 v2, v[34:35] offset:32
.LBB0_21:
	s_or_b32 exec_lo, exec_lo, s1
	v_add_nc_u32_e32 v2, 0xc00, v126
	v_add_nc_u32_e32 v3, 0x1400, v126
	;; [unrolled: 1-line block ×3, first 2 shown]
	s_waitcnt lgkmcnt(0)
	s_barrier
	buffer_gl0_inv
	ds_load_2addr_b64 v[16:19], v2 offset0:16 offset1:141
	v_add_nc_u32_e32 v2, 0x2c00, v126
	ds_load_2addr_b64 v[8:11], v3 offset0:10 offset1:160
	ds_load_2addr_b64 v[12:15], v4 offset0:48 offset1:173
	v_add_nc_u32_e32 v3, 0x1c00, v126
	v_add_nc_u32_e32 v26, 0x3400, v126
	;; [unrolled: 1-line block ×4, first 2 shown]
	ds_load_2addr_b64 v[4:7], v2 offset0:42 offset1:192
	ds_load_2addr_b64 v[20:23], v3 offset0:29 offset1:154
	;; [unrolled: 1-line block ×3, first 2 shown]
	ds_load_b64 v[30:31], v126
	ds_load_b64 v[28:29], v127
	;; [unrolled: 1-line block ×3, first 2 shown]
	s_and_saveexec_b32 s1, s0
	s_cbranch_execz .LBB0_23
; %bb.22:
	ds_load_b64 v[24:25], v126 offset:3000
	ds_load_b64 v[46:47], v126 offset:6200
	;; [unrolled: 1-line block ×5, first 2 shown]
.LBB0_23:
	s_or_b32 exec_lo, exec_lo, s1
	v_and_b32_e32 v130, 0xff, v123
	v_and_b32_e32 v131, 0xff, v124
	;; [unrolled: 1-line block ×4, first 2 shown]
	s_mov_b32 s2, 0x134454ff
	v_mul_lo_u16 v36, 0xcd, v130
	v_mul_lo_u16 v37, 0xcd, v131
	s_mov_b32 s3, 0xbfee6f0e
	s_mov_b32 s7, 0x3fee6f0e
	;; [unrolled: 1-line block ×3, first 2 shown]
	v_lshrrev_b16 v62, 10, v36
	v_lshrrev_b16 v61, 10, v37
	v_mul_u32_u24_e32 v36, 0xcccd, v133
	s_delay_alu instid0(VALU_DEP_3) | instskip(NEXT) | instid1(VALU_DEP_3)
	v_mul_lo_u16 v37, v62, 5
	v_mul_lo_u16 v38, v61, 5
	s_delay_alu instid0(VALU_DEP_3) | instskip(NEXT) | instid1(VALU_DEP_3)
	v_lshrrev_b32_e32 v60, 18, v36
	v_sub_nc_u16 v36, v123, v37
	s_delay_alu instid0(VALU_DEP_3) | instskip(NEXT) | instid1(VALU_DEP_3)
	v_sub_nc_u16 v37, v124, v38
	v_mul_lo_u16 v38, v60, 5
	s_delay_alu instid0(VALU_DEP_3) | instskip(SKIP_1) | instid1(VALU_DEP_4)
	v_and_b32_e32 v63, 0xff, v36
	v_mul_u32_u24_e32 v36, 0xcccd, v132
	v_and_b32_e32 v64, 0xff, v37
	s_delay_alu instid0(VALU_DEP_4) | instskip(NEXT) | instid1(VALU_DEP_4)
	v_sub_nc_u16 v37, v125, v38
	v_lshlrev_b32_e32 v48, 6, v63
	s_delay_alu instid0(VALU_DEP_4) | instskip(NEXT) | instid1(VALU_DEP_4)
	v_lshrrev_b32_e32 v134, 18, v36
	v_lshlrev_b32_e32 v49, 6, v64
	s_delay_alu instid0(VALU_DEP_4)
	v_and_b32_e32 v65, 0xffff, v37
	s_clause 0x1
	global_load_b128 v[36:39], v48, s[4:5]
	global_load_b128 v[42:45], v49, s[4:5]
	v_mul_lo_u16 v50, v134, 5
	v_lshlrev_b32_e32 v51, 6, v65
	s_clause 0x5
	global_load_b128 v[52:55], v48, s[4:5] offset:32
	global_load_b128 v[136:139], v49, s[4:5] offset:32
	;; [unrolled: 1-line block ×3, first 2 shown]
	global_load_b128 v[140:143], v51, s[4:5]
	global_load_b128 v[144:147], v49, s[4:5] offset:16
	global_load_b128 v[148:151], v51, s[4:5] offset:16
	v_sub_nc_u16 v50, v129, v50
	s_clause 0x1
	global_load_b128 v[70:73], v48, s[4:5] offset:48
	global_load_b128 v[152:155], v51, s[4:5] offset:32
	v_and_b32_e32 v135, 0xffff, v50
	s_delay_alu instid0(VALU_DEP_1)
	v_lshlrev_b32_e32 v48, 6, v135
	s_clause 0x5
	global_load_b128 v[156:159], v49, s[4:5] offset:48
	global_load_b128 v[160:163], v51, s[4:5] offset:48
	global_load_b128 v[164:167], v48, s[4:5]
	global_load_b128 v[168:171], v48, s[4:5] offset:16
	global_load_b128 v[172:175], v48, s[4:5] offset:32
	;; [unrolled: 1-line block ×3, first 2 shown]
	s_waitcnt vmcnt(0) lgkmcnt(0)
	s_barrier
	buffer_gl0_inv
	v_mul_f64 v[48:49], v[16:17], v[38:39]
	v_mul_f64 v[50:51], v[18:19], v[44:45]
	;; [unrolled: 1-line block ×19, first 2 shown]
	v_fma_f64 v[74:75], v[100:101], v[36:37], v[48:49]
	v_fma_f64 v[50:51], v[102:103], v[42:43], v[50:51]
	v_mul_f64 v[48:49], v[90:91], v[68:69]
	v_fma_f64 v[96:97], v[96:97], v[52:53], v[58:59]
	v_fma_f64 v[68:69], v[98:99], v[136:137], v[78:79]
	v_mul_f64 v[58:59], v[98:99], v[138:139]
	v_mul_f64 v[98:99], v[82:83], v[72:73]
	v_fma_f64 v[90:91], v[90:91], v[66:67], v[118:119]
	v_fma_f64 v[72:73], v[88:89], v[140:141], v[120:121]
	v_mul_f64 v[138:139], v[88:89], v[142:143]
	;; [unrolled: 4-line block ×5, first 2 shown]
	v_mul_f64 v[158:159], v[114:115], v[170:171]
	v_fma_f64 v[102:103], v[116:117], v[164:165], v[192:193]
	v_mul_f64 v[116:117], v[110:111], v[178:179]
	v_fma_f64 v[114:115], v[114:115], v[168:169], v[194:195]
	;; [unrolled: 2-line block ×3, first 2 shown]
	v_fma_f64 v[110:111], v[110:111], v[176:177], v[198:199]
	v_fma_f64 v[94:95], v[16:17], v[36:37], -v[38:39]
	v_fma_f64 v[86:87], v[18:19], v[42:43], -v[44:45]
	;; [unrolled: 1-line block ×3, first 2 shown]
	v_add_f64 v[16:17], v[108:109], v[74:75]
	v_fma_f64 v[66:67], v[10:11], v[66:67], -v[48:49]
	v_fma_f64 v[44:45], v[14:15], v[136:137], -v[58:59]
	;; [unrolled: 1-line block ×5, first 2 shown]
	v_add_f64 v[20:21], v[106:107], v[50:51]
	v_add_f64 v[138:139], v[90:91], -v[74:75]
	v_fma_f64 v[84:85], v[22:23], v[148:149], -v[92:93]
	v_fma_f64 v[38:39], v[0:1], v[156:157], -v[146:147]
	v_add_f64 v[0:1], v[90:91], v[96:97]
	v_add_f64 v[8:9], v[78:79], v[82:83]
	v_fma_f64 v[92:93], v[4:5], v[152:153], -v[80:81]
	v_add_f64 v[4:5], v[74:75], v[120:121]
	v_fma_f64 v[80:81], v[2:3], v[160:161], -v[150:151]
	;; [unrolled: 2-line block ×4, first 2 shown]
	v_fma_f64 v[34:35], v[34:35], v[176:177], -v[116:117]
	v_add_f64 v[10:11], v[72:73], v[100:101]
	v_fma_f64 v[32:33], v[32:33], v[172:173], -v[162:163]
	v_add_f64 v[12:13], v[114:115], v[112:113]
	v_add_f64 v[14:15], v[102:103], v[110:111]
	;; [unrolled: 1-line block ×4, first 2 shown]
	v_add_f64 v[136:137], v[120:121], -v[96:97]
	v_add_f64 v[140:141], v[96:97], -v[120:121]
	;; [unrolled: 1-line block ×14, first 2 shown]
	v_add_f64 v[16:17], v[16:17], v[90:91]
	v_add_f64 v[154:155], v[78:79], -v[72:73]
	v_add_f64 v[156:157], v[82:83], -v[100:101]
	;; [unrolled: 1-line block ×3, first 2 shown]
	v_add_f64 v[20:21], v[20:21], v[88:89]
	v_add_f64 v[54:55], v[86:87], -v[38:39]
	v_fma_f64 v[0:1], v[0:1], -0.5, v[108:109]
	v_fma_f64 v[8:9], v[8:9], -0.5, v[76:77]
	;; [unrolled: 1-line block ×3, first 2 shown]
	v_add_f64 v[108:109], v[98:99], -v[80:81]
	v_fma_f64 v[2:3], v[2:3], -0.5, v[106:107]
	v_fma_f64 v[6:7], v[6:7], -0.5, v[106:107]
	v_add_f64 v[106:107], v[84:85], -v[92:93]
	v_add_f64 v[116:117], v[46:47], -v[34:35]
	v_fma_f64 v[10:11], v[10:11], -0.5, v[76:77]
	v_add_f64 v[76:77], v[40:41], -v[32:33]
	v_fma_f64 v[12:13], v[12:13], -0.5, v[56:57]
	v_fma_f64 v[14:15], v[14:15], -0.5, v[56:57]
	v_add_f64 v[56:57], v[74:75], -v[90:91]
	v_add_f64 v[48:49], v[48:49], v[114:115]
	v_add_f64 v[22:23], v[22:23], v[78:79]
	;; [unrolled: 1-line block ×4, first 2 shown]
	v_fma_f64 v[166:167], v[18:19], s[2:3], v[0:1]
	v_fma_f64 v[0:1], v[18:19], s[6:7], v[0:1]
	;; [unrolled: 1-line block ×16, first 2 shown]
	s_mov_b32 s2, 0x4755a5e
	s_mov_b32 s3, 0xbfe2cf23
	;; [unrolled: 1-line block ×4, first 2 shown]
	v_add_f64 v[56:57], v[56:57], v[136:137]
	v_add_f64 v[136:137], v[138:139], v[140:141]
	;; [unrolled: 1-line block ×12, first 2 shown]
	v_fma_f64 v[150:151], v[52:53], s[2:3], v[166:167]
	v_fma_f64 v[0:1], v[52:53], s[6:7], v[0:1]
	;; [unrolled: 1-line block ×16, first 2 shown]
	s_mov_b32 s2, 0x372fe950
	s_mov_b32 s3, 0x3fd3c6ef
	v_add_f64 v[48:49], v[48:49], v[110:111]
	v_add_f64 v[22:23], v[22:23], v[100:101]
	v_fma_f64 v[150:151], v[56:57], s[2:3], v[150:151]
	v_fma_f64 v[0:1], v[56:57], s[2:3], v[0:1]
	;; [unrolled: 1-line block ×16, first 2 shown]
	v_and_b32_e32 v12, 0xffff, v62
	v_and_b32_e32 v13, 0xffff, v61
	v_mul_u32_u24_e32 v14, 0xc8, v60
	v_lshlrev_b32_e32 v15, 3, v63
	v_lshlrev_b32_e32 v60, 3, v64
	v_mul_u32_u24_e32 v12, 0xc8, v12
	v_mul_u32_u24_e32 v13, 0xc8, v13
	v_lshlrev_b32_e32 v61, 3, v65
	v_mul_lo_u16 v107, v134, 25
	v_lshlrev_b32_e32 v108, 3, v135
	v_add3_u32 v116, 0, v12, v15
	v_add3_u32 v117, 0, v13, v60
	;; [unrolled: 1-line block ×3, first 2 shown]
	ds_store_2addr_b64 v116, v[16:17], v[150:151] offset1:5
	ds_store_2addr_b64 v116, v[152:153], v[4:5] offset0:10 offset1:15
	ds_store_b64 v116, v[0:1] offset:160
	ds_store_2addr_b64 v117, v[20:21], v[18:19] offset1:5
	ds_store_2addr_b64 v117, v[136:137], v[6:7] offset0:10 offset1:15
	ds_store_b64 v117, v[2:3] offset:160
	;; [unrolled: 3-line block ×3, first 2 shown]
	s_and_saveexec_b32 s1, s0
	s_cbranch_execz .LBB0_25
; %bb.24:
	v_and_b32_e32 v0, 0xffff, v107
	s_delay_alu instid0(VALU_DEP_1) | instskip(NEXT) | instid1(VALU_DEP_1)
	v_lshlrev_b32_e32 v0, 3, v0
	v_add3_u32 v0, 0, v108, v0
	ds_store_2addr_b64 v0, v[48:49], v[54:55] offset1:5
	ds_store_2addr_b64 v0, v[58:59], v[56:57] offset0:10 offset1:15
	ds_store_b64 v0, v[52:53] offset:160
.LBB0_25:
	s_or_b32 exec_lo, exec_lo, s1
	v_add_nc_u32_e32 v0, 0xc00, v126
	v_add_nc_u32_e32 v4, 0x1400, v126
	;; [unrolled: 1-line block ×6, first 2 shown]
	s_waitcnt lgkmcnt(0)
	s_barrier
	buffer_gl0_inv
	ds_load_2addr_b64 v[0:3], v0 offset0:16 offset1:141
	ds_load_2addr_b64 v[4:7], v4 offset0:10 offset1:160
	;; [unrolled: 1-line block ×6, first 2 shown]
	ds_load_b64 v[64:65], v126
	ds_load_b64 v[62:63], v127
	ds_load_b64 v[60:61], v128
	v_lshl_add_u32 v106, v123, 3, 0
	s_and_saveexec_b32 s1, s0
	s_cbranch_execz .LBB0_27
; %bb.26:
	ds_load_b64 v[48:49], v106 offset:3000
	ds_load_b64 v[54:55], v126 offset:6200
	;; [unrolled: 1-line block ×5, first 2 shown]
.LBB0_27:
	s_or_b32 exec_lo, exec_lo, s1
	v_add_f64 v[76:77], v[66:67], v[42:43]
	v_add_f64 v[134:135], v[94:95], v[36:37]
	;; [unrolled: 1-line block ×9, first 2 shown]
	v_add_f64 v[74:75], v[74:75], -v[120:121]
	v_add_f64 v[90:91], v[90:91], -v[96:97]
	v_add_f64 v[96:97], v[28:29], v[86:87]
	v_add_f64 v[120:121], v[26:27], v[98:99]
	v_add_f64 v[150:151], v[24:25], v[46:47]
	v_add_f64 v[50:51], v[50:51], -v[118:119]
	v_add_f64 v[68:69], v[88:89], -v[68:69]
	v_add_f64 v[72:73], v[72:73], -v[100:101]
	v_add_f64 v[78:79], v[78:79], -v[82:83]
	v_add_f64 v[100:101], v[102:103], -v[110:111]
	v_add_f64 v[102:103], v[114:115], -v[112:113]
	s_mov_b32 s2, 0x134454ff
	s_mov_b32 s3, 0x3fee6f0e
	;; [unrolled: 1-line block ×4, first 2 shown]
	v_add_f64 v[112:113], v[94:95], -v[66:67]
	v_add_f64 v[114:115], v[36:37], -v[42:43]
	;; [unrolled: 1-line block ×6, first 2 shown]
	s_waitcnt lgkmcnt(0)
	s_barrier
	buffer_gl0_inv
	v_fma_f64 v[76:77], v[76:77], -0.5, v[30:31]
	v_fma_f64 v[30:31], v[134:135], -0.5, v[30:31]
	;; [unrolled: 1-line block ×8, first 2 shown]
	v_add_f64 v[134:135], v[86:87], -v[70:71]
	v_add_f64 v[136:137], v[38:39], -v[44:45]
	;; [unrolled: 1-line block ×8, first 2 shown]
	v_add_f64 v[66:67], v[148:149], v[66:67]
	v_add_f64 v[70:71], v[96:97], v[70:71]
	;; [unrolled: 1-line block ×4, first 2 shown]
	v_add_f64 v[138:139], v[44:45], -v[38:39]
	v_add_f64 v[144:145], v[92:93], -v[80:81]
	v_add_f64 v[112:113], v[112:113], v[114:115]
	v_add_f64 v[94:95], v[94:95], v[118:119]
	v_fma_f64 v[96:97], v[74:75], s[2:3], v[76:77]
	v_fma_f64 v[76:77], v[74:75], s[6:7], v[76:77]
	;; [unrolled: 1-line block ×16, first 2 shown]
	s_mov_b32 s2, 0x4755a5e
	s_mov_b32 s3, 0x3fe2cf23
	s_mov_b32 s7, 0xbfe2cf23
	s_mov_b32 s6, s2
	v_add_f64 v[114:115], v[134:135], v[136:137]
	v_add_f64 v[118:119], v[140:141], v[142:143]
	;; [unrolled: 1-line block ×10, first 2 shown]
	v_fma_f64 v[40:41], v[90:91], s[2:3], v[96:97]
	v_fma_f64 v[70:71], v[90:91], s[6:7], v[76:77]
	;; [unrolled: 1-line block ×16, first 2 shown]
	s_mov_b32 s2, 0x372fe950
	s_mov_b32 s3, 0x3fd3c6ef
	v_add_f64 v[36:37], v[42:43], v[36:37]
	v_add_f64 v[38:39], v[44:45], v[38:39]
	;; [unrolled: 1-line block ×4, first 2 shown]
	v_fma_f64 v[32:33], v[112:113], s[2:3], v[40:41]
	v_fma_f64 v[34:35], v[112:113], s[2:3], v[70:71]
	;; [unrolled: 1-line block ×16, first 2 shown]
	ds_store_2addr_b64 v116, v[36:37], v[32:33] offset1:5
	ds_store_2addr_b64 v116, v[40:41], v[30:31] offset0:10 offset1:15
	ds_store_b64 v116, v[34:35] offset:160
	ds_store_2addr_b64 v117, v[38:39], v[44:45] offset1:5
	ds_store_2addr_b64 v117, v[68:69], v[28:29] offset0:10 offset1:15
	ds_store_b64 v117, v[66:67] offset:160
	;; [unrolled: 3-line block ×3, first 2 shown]
	s_and_saveexec_b32 s1, s0
	s_cbranch_execz .LBB0_29
; %bb.28:
	v_and_b32_e32 v24, 0xffff, v107
	s_delay_alu instid0(VALU_DEP_1) | instskip(NEXT) | instid1(VALU_DEP_1)
	v_lshlrev_b32_e32 v24, 3, v24
	v_add3_u32 v24, 0, v108, v24
	ds_store_2addr_b64 v24, v[50:51], v[74:75] offset1:5
	ds_store_2addr_b64 v24, v[78:79], v[76:77] offset0:10 offset1:15
	ds_store_b64 v24, v[72:73] offset:160
.LBB0_29:
	s_or_b32 exec_lo, exec_lo, s1
	v_add_nc_u32_e32 v24, 0xc00, v126
	v_add_nc_u32_e32 v25, 0x1400, v126
	s_waitcnt lgkmcnt(0)
	s_barrier
	buffer_gl0_inv
	ds_load_2addr_b64 v[40:43], v24 offset0:16 offset1:141
	v_add_nc_u32_e32 v24, 0x2400, v126
	v_add_nc_u32_e32 v26, 0x2c00, v126
	;; [unrolled: 1-line block ×4, first 2 shown]
	ds_load_2addr_b64 v[36:39], v25 offset0:10 offset1:160
	ds_load_2addr_b64 v[44:47], v24 offset0:48 offset1:173
	;; [unrolled: 1-line block ×5, first 2 shown]
	ds_load_b64 v[70:71], v126
	ds_load_b64 v[68:69], v127
	;; [unrolled: 1-line block ×3, first 2 shown]
	s_and_saveexec_b32 s1, s0
	s_cbranch_execz .LBB0_31
; %bb.30:
	ds_load_b64 v[50:51], v106 offset:3000
	ds_load_b64 v[74:75], v126 offset:6200
	;; [unrolled: 1-line block ×5, first 2 shown]
.LBB0_31:
	s_or_b32 exec_lo, exec_lo, s1
	v_mul_u32_u24_e32 v80, 0x47af, v133
	v_mul_lo_u16 v82, v130, 41
	v_mul_lo_u16 v83, v131, 41
	s_mov_b32 s2, 0x134454ff
	s_mov_b32 s3, 0xbfee6f0e
	v_lshrrev_b32_e32 v80, 16, v80
	v_lshrrev_b16 v121, 10, v82
	v_lshrrev_b16 v183, 10, v83
	s_mov_b32 s7, 0x3fee6f0e
	s_mov_b32 s6, s2
	v_sub_nc_u16 v81, v125, v80
	s_mov_b32 s12, 0x4755a5e
	v_mul_lo_u16 v82, v183, 25
	s_mov_b32 s13, 0xbfe2cf23
	s_mov_b32 s15, 0x3fe2cf23
	v_lshrrev_b16 v81, 1, v81
	s_mov_b32 s14, s12
	s_mov_b32 s16, 0x372fe950
	;; [unrolled: 1-line block ×3, first 2 shown]
	s_delay_alu instid0(VALU_DEP_1) | instskip(SKIP_1) | instid1(VALU_DEP_2)
	v_add_nc_u16 v80, v81, v80
	v_mul_lo_u16 v81, v121, 25
	v_lshrrev_b16 v184, 4, v80
	s_delay_alu instid0(VALU_DEP_2) | instskip(SKIP_1) | instid1(VALU_DEP_3)
	v_sub_nc_u16 v80, v123, v81
	v_sub_nc_u16 v81, v124, v82
	v_mul_lo_u16 v82, v184, 25
	s_delay_alu instid0(VALU_DEP_3) | instskip(NEXT) | instid1(VALU_DEP_3)
	v_and_b32_e32 v185, 0xff, v80
	v_and_b32_e32 v186, 0xff, v81
	s_delay_alu instid0(VALU_DEP_3) | instskip(NEXT) | instid1(VALU_DEP_3)
	v_sub_nc_u16 v80, v125, v82
	v_lshlrev_b32_e32 v81, 6, v185
	s_delay_alu instid0(VALU_DEP_3)
	v_lshlrev_b32_e32 v82, 6, v186
	s_clause 0x3
	global_load_b128 v[96:99], v81, s[4:5] offset:320
	global_load_b128 v[100:103], v81, s[4:5] offset:336
	;; [unrolled: 1-line block ×4, first 2 shown]
	v_and_b32_e32 v187, 0xffff, v80
	s_delay_alu instid0(VALU_DEP_1)
	v_lshlrev_b32_e32 v80, 6, v187
	s_clause 0x7
	global_load_b128 v[115:118], v81, s[4:5] offset:368
	global_load_b128 v[133:136], v82, s[4:5] offset:336
	;; [unrolled: 1-line block ×8, first 2 shown]
	v_mul_u32_u24_e32 v80, 0x47af, v132
	s_delay_alu instid0(VALU_DEP_1) | instskip(NEXT) | instid1(VALU_DEP_1)
	v_lshrrev_b32_e32 v80, 16, v80
	v_sub_nc_u16 v81, v129, v80
	s_delay_alu instid0(VALU_DEP_1) | instskip(NEXT) | instid1(VALU_DEP_1)
	v_lshrrev_b16 v81, 1, v81
	v_add_nc_u16 v80, v81, v80
	s_delay_alu instid0(VALU_DEP_1) | instskip(NEXT) | instid1(VALU_DEP_1)
	v_lshrrev_b16 v80, 4, v80
	v_mul_lo_u16 v80, v80, 25
	s_delay_alu instid0(VALU_DEP_1) | instskip(NEXT) | instid1(VALU_DEP_1)
	v_sub_nc_u16 v80, v129, v80
	v_and_b32_e32 v188, 0xffff, v80
	s_delay_alu instid0(VALU_DEP_1)
	v_lshlrev_b32_e32 v80, 6, v188
	s_clause 0x3
	global_load_b128 v[129:132], v80, s[4:5] offset:320
	global_load_b128 v[161:164], v80, s[4:5] offset:336
	;; [unrolled: 1-line block ×4, first 2 shown]
	s_waitcnt vmcnt(0) lgkmcnt(0)
	s_barrier
	buffer_gl0_inv
	v_mul_f64 v[80:81], v[40:41], v[98:99]
	v_mul_f64 v[82:83], v[38:39], v[102:103]
	;; [unrolled: 1-line block ×24, first 2 shown]
	v_fma_f64 v[84:85], v[0:1], v[96:97], v[80:81]
	v_fma_f64 v[86:87], v[6:7], v[100:101], v[82:83]
	;; [unrolled: 1-line block ×12, first 2 shown]
	v_fma_f64 v[12:13], v[40:41], v[96:97], -v[98:99]
	v_fma_f64 v[8:9], v[38:39], v[100:101], -v[102:103]
	;; [unrolled: 1-line block ×12, first 2 shown]
	v_mul_f64 v[153:154], v[74:75], v[131:132]
	v_mul_f64 v[131:132], v[54:55], v[131:132]
	;; [unrolled: 1-line block ×7, first 2 shown]
	v_add_f64 v[44:45], v[64:65], v[84:85]
	v_add_f64 v[111:112], v[86:87], -v[84:85]
	v_add_f64 v[32:33], v[86:87], v[88:89]
	v_add_f64 v[98:99], v[62:63], v[20:21]
	;; [unrolled: 1-line block ×4, first 2 shown]
	v_add_f64 v[109:110], v[94:95], -v[88:89]
	v_add_f64 v[113:114], v[88:89], -v[94:95]
	v_add_f64 v[38:39], v[18:19], v[82:83]
	v_add_f64 v[34:35], v[16:17], v[22:23]
	;; [unrolled: 1-line block ×4, first 2 shown]
	v_add_f64 v[115:116], v[20:21], -v[16:17]
	v_add_f64 v[117:118], v[90:91], -v[22:23]
	;; [unrolled: 1-line block ×12, first 2 shown]
	v_add_f64 v[44:45], v[44:45], v[86:87]
	v_fma_f64 v[32:33], v[32:33], -0.5, v[64:65]
	v_add_f64 v[98:99], v[98:99], v[16:17]
	v_fma_f64 v[36:37], v[36:37], -0.5, v[64:65]
	v_add_f64 v[64:65], v[10:11], -v[6:7]
	v_fma_f64 v[30:31], v[30:31], -0.5, v[62:63]
	v_fma_f64 v[38:39], v[38:39], -0.5, v[60:61]
	;; [unrolled: 1-line block ×3, first 2 shown]
	v_add_f64 v[62:63], v[40:41], -v[24:25]
	v_fma_f64 v[42:43], v[42:43], -0.5, v[60:61]
	v_add_f64 v[60:61], v[84:85], -v[86:87]
	v_add_f64 v[100:101], v[100:101], v[18:19]
	v_fma_f64 v[141:142], v[46:47], s[2:3], v[32:33]
	v_fma_f64 v[32:33], v[46:47], s[6:7], v[32:33]
	;; [unrolled: 1-line block ×12, first 2 shown]
	v_add_f64 v[60:61], v[60:61], v[109:110]
	v_add_f64 v[109:110], v[111:112], v[113:114]
	;; [unrolled: 1-line block ×9, first 2 shown]
	v_fma_f64 v[44:45], v[58:59], v[161:162], v[155:156]
	v_fma_f64 v[124:125], v[96:97], s[12:13], v[141:142]
	;; [unrolled: 1-line block ×9, first 2 shown]
	v_mul_f64 v[62:63], v[52:53], v[171:172]
	v_fma_f64 v[137:138], v[64:65], s[12:13], v[145:146]
	v_fma_f64 v[64:65], v[64:65], s[14:15], v[34:35]
	v_fma_f64 v[141:142], v[107:108], s[12:13], v[151:152]
	v_fma_f64 v[107:108], v[107:108], s[14:15], v[42:43]
	v_fma_f64 v[42:43], v[54:55], v[129:130], v[153:154]
	v_fma_f64 v[36:37], v[74:75], v[129:130], -v[131:132]
	v_fma_f64 v[34:35], v[78:79], v[161:162], -v[157:158]
	v_fma_f64 v[46:47], v[56:57], v[165:166], v[159:160]
	v_fma_f64 v[32:33], v[76:77], v[165:166], -v[163:164]
	v_fma_f64 v[52:53], v[52:53], v[169:170], v[167:168]
	v_add_f64 v[58:59], v[119:120], v[94:95]
	v_add_f64 v[74:75], v[98:99], v[90:91]
	;; [unrolled: 1-line block ×3, first 2 shown]
	v_and_b32_e32 v55, 0xffff, v183
	v_and_b32_e32 v54, 0xffff, v121
	v_lshlrev_b32_e32 v57, 3, v186
	v_lshlrev_b32_e32 v56, 3, v185
	s_delay_alu instid0(VALU_DEP_4) | instskip(NEXT) | instid1(VALU_DEP_4)
	v_mul_u32_u24_e32 v55, 0x3e8, v55
	v_mul_u32_u24_e32 v54, 0x3e8, v54
	s_delay_alu instid0(VALU_DEP_2) | instskip(NEXT) | instid1(VALU_DEP_2)
	v_add3_u32 v55, 0, v55, v57
	v_add3_u32 v56, 0, v54, v56
	v_lshl_add_u32 v54, v188, 3, 0
	v_fma_f64 v[78:79], v[60:61], s[16:17], v[124:125]
	v_fma_f64 v[60:61], v[60:61], s[16:17], v[96:97]
	;; [unrolled: 1-line block ×8, first 2 shown]
	v_fma_f64 v[38:39], v[72:73], v[169:170], -v[62:63]
	v_fma_f64 v[100:101], v[111:112], s[16:17], v[137:138]
	v_fma_f64 v[64:65], v[111:112], s[16:17], v[64:65]
	;; [unrolled: 1-line block ×4, first 2 shown]
	v_and_b32_e32 v62, 0xffff, v184
	s_delay_alu instid0(VALU_DEP_1) | instskip(SKIP_1) | instid1(VALU_DEP_1)
	v_mul_u32_u24_e32 v57, 0x3e8, v62
	v_lshlrev_b32_e32 v62, 3, v187
	v_add3_u32 v57, 0, v57, v62
	ds_store_2addr_b64 v56, v[58:59], v[78:79] offset1:25
	ds_store_2addr_b64 v56, v[96:97], v[98:99] offset0:50 offset1:75
	ds_store_b64 v56, v[60:61] offset:800
	ds_store_2addr_b64 v55, v[74:75], v[100:101] offset1:25
	ds_store_2addr_b64 v55, v[109:110], v[30:31] offset0:50 offset1:75
	ds_store_b64 v55, v[64:65] offset:800
	;; [unrolled: 3-line block ×3, first 2 shown]
	s_and_saveexec_b32 s1, s0
	s_cbranch_execz .LBB0_33
; %bb.32:
	v_add_f64 v[30:31], v[42:43], v[52:53]
	v_add_f64 v[58:59], v[44:45], v[46:47]
	v_add_f64 v[60:61], v[36:37], -v[38:39]
	v_add_f64 v[64:65], v[48:49], v[42:43]
	v_add_f64 v[62:63], v[34:35], -v[32:33]
	v_add_f64 v[72:73], v[46:47], -v[52:53]
	;; [unrolled: 1-line block ×4, first 2 shown]
	v_fma_f64 v[30:31], v[30:31], -0.5, v[48:49]
	v_fma_f64 v[48:49], v[58:59], -0.5, v[48:49]
	v_add_f64 v[58:59], v[44:45], -v[42:43]
	v_add_f64 v[64:65], v[64:65], v[44:45]
	s_delay_alu instid0(VALU_DEP_4) | instskip(NEXT) | instid1(VALU_DEP_4)
	v_fma_f64 v[78:79], v[62:63], s[2:3], v[30:31]
	v_fma_f64 v[96:97], v[60:61], s[2:3], v[48:49]
	;; [unrolled: 1-line block ×4, first 2 shown]
	v_add_f64 v[58:59], v[58:59], v[72:73]
	v_add_f64 v[72:73], v[74:75], v[76:77]
	;; [unrolled: 1-line block ×3, first 2 shown]
	v_fma_f64 v[74:75], v[60:61], s[14:15], v[78:79]
	v_fma_f64 v[76:77], v[62:63], s[12:13], v[96:97]
	;; [unrolled: 1-line block ×4, first 2 shown]
	v_add_f64 v[60:61], v[64:65], v[52:53]
	v_fma_f64 v[62:63], v[58:59], s[16:17], v[74:75]
	v_fma_f64 v[64:65], v[72:73], s[16:17], v[76:77]
	;; [unrolled: 1-line block ×4, first 2 shown]
	v_add_nc_u32_e32 v58, 0x3800, v54
	ds_store_2addr_b64 v58, v[60:61], v[64:65] offset0:83 offset1:108
	ds_store_2addr_b64 v58, v[30:31], v[62:63] offset0:133 offset1:158
	ds_store_b64 v54, v[48:49] offset:15800
.LBB0_33:
	s_or_b32 exec_lo, exec_lo, s1
	v_add_f64 v[30:31], v[8:9], v[4:5]
	v_add_f64 v[48:49], v[12:13], v[0:1]
	;; [unrolled: 1-line block ×7, first 2 shown]
	v_add_f64 v[74:75], v[84:85], -v[94:95]
	v_add_f64 v[78:79], v[68:69], v[14:15]
	v_add_f64 v[76:77], v[86:87], -v[88:89]
	v_add_f64 v[84:85], v[66:67], v[26:27]
	v_add_f64 v[20:21], v[20:21], -v[90:91]
	v_add_f64 v[16:17], v[16:17], -v[22:23]
	;; [unrolled: 1-line block ×8, first 2 shown]
	s_waitcnt lgkmcnt(0)
	s_barrier
	buffer_gl0_inv
	v_fma_f64 v[30:31], v[30:31], -0.5, v[70:71]
	v_fma_f64 v[48:49], v[48:49], -0.5, v[70:71]
	;; [unrolled: 1-line block ×4, first 2 shown]
	v_add_f64 v[58:59], v[80:81], -v[92:93]
	v_fma_f64 v[62:63], v[62:63], -0.5, v[66:67]
	v_fma_f64 v[64:65], v[64:65], -0.5, v[66:67]
	v_add_f64 v[66:67], v[12:13], -v[8:9]
	v_add_f64 v[68:69], v[0:1], -v[4:5]
	;; [unrolled: 1-line block ×5, first 2 shown]
	v_add_f64 v[8:9], v[72:73], v[8:9]
	v_add_f64 v[10:11], v[78:79], v[10:11]
	v_add_f64 v[70:71], v[4:5], -v[0:1]
	v_add_f64 v[40:41], v[84:85], v[40:41]
	v_add_f64 v[92:93], v[24:25], -v[28:29]
	v_fma_f64 v[72:73], v[74:75], s[6:7], v[30:31]
	v_fma_f64 v[30:31], v[74:75], s[2:3], v[30:31]
	;; [unrolled: 1-line block ×12, first 2 shown]
	v_add_f64 v[66:67], v[66:67], v[68:69]
	v_add_f64 v[4:5], v[8:9], v[4:5]
	;; [unrolled: 1-line block ×9, first 2 shown]
	v_fma_f64 v[10:11], v[76:77], s[14:15], v[72:73]
	v_fma_f64 v[24:25], v[76:77], s[12:13], v[30:31]
	;; [unrolled: 1-line block ×12, first 2 shown]
	v_add_f64 v[62:63], v[4:5], v[0:1]
	v_add_f64 v[64:65], v[6:7], v[2:3]
	v_add_nc_u32_e32 v0, 0xc00, v126
	v_add_f64 v[74:75], v[8:9], v[28:29]
	v_add_nc_u32_e32 v1, 0x1400, v126
	v_add_nc_u32_e32 v2, 0x1c00, v126
	;; [unrolled: 1-line block ×3, first 2 shown]
	v_fma_f64 v[76:77], v[66:67], s[16:17], v[10:11]
	v_fma_f64 v[66:67], v[66:67], s[16:17], v[24:25]
	;; [unrolled: 1-line block ×12, first 2 shown]
	v_add_nc_u32_e32 v12, 0x2c00, v126
	v_add_nc_u32_e32 v20, 0x3400, v126
	ds_load_b64 v[24:25], v126
	ds_load_b64 v[26:27], v127
	;; [unrolled: 1-line block ×3, first 2 shown]
	ds_load_b64 v[28:29], v106 offset:3000
	ds_load_2addr_b64 v[8:11], v0 offset0:116 offset1:241
	ds_load_2addr_b64 v[16:19], v1 offset0:110 offset1:235
	;; [unrolled: 1-line block ×6, first 2 shown]
	s_waitcnt lgkmcnt(0)
	s_barrier
	buffer_gl0_inv
	ds_store_2addr_b64 v56, v[62:63], v[76:77] offset1:25
	ds_store_2addr_b64 v56, v[78:79], v[40:41] offset0:50 offset1:75
	ds_store_b64 v56, v[66:67] offset:800
	ds_store_2addr_b64 v55, v[64:65], v[48:49] offset1:25
	ds_store_2addr_b64 v55, v[80:81], v[82:83] offset0:50 offset1:75
	ds_store_b64 v55, v[68:69] offset:800
	;; [unrolled: 3-line block ×3, first 2 shown]
	s_and_saveexec_b32 s1, s0
	s_cbranch_execz .LBB0_35
; %bb.34:
	v_add_f64 v[40:41], v[34:35], v[32:33]
	v_add_f64 v[48:49], v[36:37], v[38:39]
	;; [unrolled: 1-line block ×3, first 2 shown]
	v_add_f64 v[42:43], v[42:43], -v[52:53]
	v_add_f64 v[44:45], v[44:45], -v[46:47]
	s_mov_b32 s2, 0x134454ff
	s_mov_b32 s3, 0x3fee6f0e
	;; [unrolled: 1-line block ×4, first 2 shown]
	v_add_f64 v[52:53], v[32:33], -v[38:39]
	v_fma_f64 v[40:41], v[40:41], -0.5, v[50:51]
	v_fma_f64 v[46:47], v[48:49], -0.5, v[50:51]
	v_add_f64 v[48:49], v[36:37], -v[34:35]
	v_add_f64 v[50:51], v[38:39], -v[32:33]
	;; [unrolled: 1-line block ×3, first 2 shown]
	v_add_f64 v[34:35], v[55:56], v[34:35]
	v_fma_f64 v[55:56], v[42:43], s[2:3], v[40:41]
	v_fma_f64 v[57:58], v[44:45], s[6:7], v[46:47]
	;; [unrolled: 1-line block ×4, first 2 shown]
	s_mov_b32 s2, 0x4755a5e
	s_mov_b32 s3, 0x3fe2cf23
	;; [unrolled: 1-line block ×4, first 2 shown]
	v_add_f64 v[48:49], v[48:49], v[50:51]
	v_add_f64 v[32:33], v[34:35], v[32:33]
	;; [unrolled: 1-line block ×3, first 2 shown]
	v_fma_f64 v[34:35], v[44:45], s[2:3], v[55:56]
	v_fma_f64 v[50:51], v[42:43], s[2:3], v[57:58]
	;; [unrolled: 1-line block ×4, first 2 shown]
	s_mov_b32 s2, 0x372fe950
	s_mov_b32 s3, 0x3fd3c6ef
	v_add_f64 v[32:33], v[32:33], v[38:39]
	v_fma_f64 v[34:35], v[48:49], s[2:3], v[34:35]
	v_fma_f64 v[38:39], v[36:37], s[2:3], v[50:51]
	;; [unrolled: 1-line block ×4, first 2 shown]
	v_add_nc_u32_e32 v42, 0x3800, v54
	ds_store_2addr_b64 v42, v[32:33], v[34:35] offset0:83 offset1:108
	ds_store_2addr_b64 v42, v[38:39], v[36:37] offset0:133 offset1:158
	ds_store_b64 v54, v[40:41] offset:15800
.LBB0_35:
	s_or_b32 exec_lo, exec_lo, s1
	s_waitcnt lgkmcnt(0)
	s_barrier
	buffer_gl0_inv
	s_and_saveexec_b32 s0, vcc_lo
	s_cbranch_execz .LBB0_37
; %bb.36:
	v_mul_u32_u24_e32 v32, 15, v123
	v_add_nc_u32_e32 v92, 0x2400, v126
	v_add_nc_u32_e32 v96, 0x1c00, v126
	;; [unrolled: 1-line block ×4, first 2 shown]
	v_lshlrev_b32_e32 v88, 4, v32
	v_add_nc_u32_e32 v110, 0x1400, v126
	v_add_nc_u32_e32 v114, 0x3400, v126
	s_mov_b32 s0, 0x667f3bcd
	s_mov_b32 s1, 0x3fe6a09e
	s_clause 0xe
	global_load_b128 v[32:35], v88, s[4:5] offset:2032
	global_load_b128 v[36:39], v88, s[4:5] offset:1968
	;; [unrolled: 1-line block ×15, first 2 shown]
	ds_load_b64 v[118:119], v128
	ds_load_2addr_b64 v[92:95], v92 offset0:98 offset1:223
	ds_load_b64 v[120:121], v127
	ds_load_b64 v[123:124], v106 offset:3000
	ds_load_2addr_b64 v[96:99], v96 offset0:104 offset1:229
	ds_load_2addr_b64 v[100:103], v100 offset0:116 offset1:241
	;; [unrolled: 1-line block ×5, first 2 shown]
	s_mov_b32 s7, 0xbfe6a09e
	s_mov_b32 s6, s0
	v_add_nc_u32_e32 v125, 0x3e8, v122
	s_mov_b32 s2, 0xcf328d46
	s_mov_b32 s3, 0x3fed906b
	;; [unrolled: 1-line block ×8, first 2 shown]
	s_waitcnt vmcnt(14)
	v_mul_f64 v[127:128], v[0:1], v[34:35]
	s_waitcnt vmcnt(13)
	v_mul_f64 v[129:130], v[8:9], v[36:37]
	;; [unrolled: 2-line block ×7, first 2 shown]
	s_waitcnt lgkmcnt(8)
	v_mul_f64 v[46:47], v[118:119], v[46:47]
	s_waitcnt lgkmcnt(7)
	v_mul_f64 v[50:51], v[92:93], v[50:51]
	v_mul_f64 v[16:17], v[16:17], v[54:55]
	;; [unrolled: 1-line block ×3, first 2 shown]
	s_waitcnt vmcnt(7)
	v_mul_f64 v[141:142], v[26:27], v[62:63]
	s_waitcnt vmcnt(6)
	v_mul_f64 v[143:144], v[2:3], v[66:67]
	;; [unrolled: 2-line block ×8, first 2 shown]
	s_waitcnt lgkmcnt(5)
	v_mul_f64 v[78:79], v[123:124], v[78:79]
	v_mul_f64 v[82:83], v[94:95], v[82:83]
	;; [unrolled: 1-line block ×5, first 2 shown]
	s_waitcnt lgkmcnt(4)
	v_mul_f64 v[66:67], v[98:99], v[66:67]
	v_mul_f64 v[10:11], v[10:11], v[70:71]
	;; [unrolled: 1-line block ×6, first 2 shown]
	v_fma_f64 v[96:97], v[96:97], v[32:33], -v[127:128]
	s_waitcnt lgkmcnt(3)
	v_fma_f64 v[38:39], v[100:101], v[38:39], v[129:130]
	s_waitcnt lgkmcnt(2)
	v_fma_f64 v[42:43], v[106:107], v[42:43], v[131:132]
	v_fma_f64 v[118:119], v[118:119], v[44:45], -v[133:134]
	v_fma_f64 v[92:93], v[92:93], v[48:49], -v[135:136]
	s_waitcnt lgkmcnt(1)
	v_fma_f64 v[54:55], v[110:111], v[54:55], v[137:138]
	s_waitcnt lgkmcnt(0)
	v_fma_f64 v[58:59], v[114:115], v[58:59], v[139:140]
	v_fma_f64 v[30:31], v[30:31], v[44:45], v[46:47]
	;; [unrolled: 1-line block ×3, first 2 shown]
	v_fma_f64 v[16:17], v[110:111], v[52:53], -v[16:17]
	v_fma_f64 v[20:21], v[114:115], v[56:57], -v[20:21]
	;; [unrolled: 1-line block ×4, first 2 shown]
	v_fma_f64 v[48:49], v[102:103], v[70:71], v[145:146]
	v_fma_f64 v[50:51], v[108:109], v[74:75], v[147:148]
	v_fma_f64 v[52:53], v[123:124], v[76:77], -v[149:150]
	v_fma_f64 v[56:57], v[94:95], v[80:81], -v[151:152]
	v_fma_f64 v[70:71], v[112:113], v[86:87], v[153:154]
	v_fma_f64 v[74:75], v[116:117], v[90:91], v[155:156]
	;; [unrolled: 1-line block ×4, first 2 shown]
	v_fma_f64 v[18:19], v[112:113], v[84:85], -v[18:19]
	v_fma_f64 v[22:23], v[116:117], v[88:89], -v[22:23]
	v_fma_f64 v[26:27], v[26:27], v[60:61], v[62:63]
	v_fma_f64 v[2:3], v[2:3], v[64:65], v[66:67]
	v_fma_f64 v[10:11], v[102:103], v[68:69], -v[10:11]
	v_fma_f64 v[14:15], v[108:109], v[72:73], -v[14:15]
	;; [unrolled: 1-line block ×4, first 2 shown]
	v_fma_f64 v[0:1], v[0:1], v[32:33], v[34:35]
	ds_load_b64 v[32:33], v126
	v_mad_u64_u32 v[60:61], null, s8, v122, 0
	v_add_co_u32 v135, vcc_lo, s10, v104
	v_add_co_ci_u32_e32 v136, vcc_lo, s11, v105, vcc_lo
	v_add_nc_u32_e32 v131, 0x6d6, v122
	v_add_nc_u32_e32 v115, 0x7d, v122
	;; [unrolled: 1-line block ×3, first 2 shown]
	v_add_f64 v[36:37], v[38:39], -v[42:43]
	v_add_nc_u32_e32 v132, 0x753, v122
	v_add_f64 v[40:41], v[118:119], -v[92:93]
	v_mad_u64_u32 v[92:93], null, s8, v131, 0
	v_add_f64 v[42:43], v[54:55], -v[58:59]
	v_add_f64 v[4:5], v[30:31], -v[4:5]
	v_add_nc_u32_e32 v116, 0xfa, v122
	v_add_f64 v[20:21], v[16:17], -v[20:21]
	v_mad_u64_u32 v[80:81], null, s8, v115, 0
	s_waitcnt lgkmcnt(0)
	v_add_f64 v[34:35], v[32:33], -v[96:97]
	v_add_f64 v[46:47], v[44:45], -v[46:47]
	;; [unrolled: 1-line block ×4, first 2 shown]
	v_mad_u64_u32 v[82:83], null, s8, v116, 0
	v_add_f64 v[58:59], v[70:71], -v[74:75]
	v_add_f64 v[6:7], v[28:29], -v[6:7]
	v_mad_u64_u32 v[84:85], null, s8, v117, 0
	v_add_f64 v[22:23], v[18:19], -v[22:23]
	v_add_f64 v[2:3], v[26:27], -v[2:3]
	v_add_nc_u32_e32 v129, 0x5dc, v122
	v_add_f64 v[14:15], v[10:11], -v[14:15]
	v_mad_u64_u32 v[98:99], null, s8, v132, 0
	v_add_f64 v[12:13], v[8:9], -v[12:13]
	v_add_f64 v[0:1], v[24:25], -v[0:1]
	v_add_nc_u32_e32 v120, 0x1f4, v122
	v_mad_u64_u32 v[88:89], null, s8, v129, 0
	v_add_nc_u32_e32 v127, 0x4e2, v122
	v_add_nc_u32_e32 v121, 0x271, v122
	s_delay_alu instid0(VALU_DEP_4)
	v_mad_u64_u32 v[86:87], null, s8, v120, 0
	v_add_nc_u32_e32 v123, 0x2ee, v122
	v_add_f64 v[64:65], v[40:41], -v[42:43]
	v_add_f64 v[66:67], v[4:5], v[20:21]
	v_fma_f64 v[16:17], v[16:17], 2.0, -v[20:21]
	v_add_f64 v[62:63], v[34:35], -v[36:37]
	v_fma_f64 v[32:33], v[32:33], 2.0, -v[34:35]
	v_add_f64 v[68:69], v[46:47], -v[50:51]
	v_fma_f64 v[36:37], v[38:39], 2.0, -v[36:37]
	v_fma_f64 v[20:21], v[48:49], 2.0, -v[50:51]
	v_mad_u64_u32 v[48:49], null, s8, v123, 0
	v_add_f64 v[72:73], v[56:57], -v[58:59]
	v_fma_f64 v[28:29], v[28:29], 2.0, -v[6:7]
	v_add_f64 v[74:75], v[6:7], v[22:23]
	v_fma_f64 v[26:27], v[26:27], 2.0, -v[2:3]
	v_fma_f64 v[18:19], v[18:19], 2.0, -v[22:23]
	v_add_f64 v[76:77], v[2:3], v[14:15]
	v_fma_f64 v[10:11], v[10:11], 2.0, -v[14:15]
	v_fma_f64 v[14:15], v[52:53], 2.0, -v[56:57]
	;; [unrolled: 1-line block ×3, first 2 shown]
	v_add_f64 v[78:79], v[0:1], v[12:13]
	v_fma_f64 v[12:13], v[30:31], 2.0, -v[4:5]
	v_fma_f64 v[30:31], v[54:55], 2.0, -v[42:43]
	;; [unrolled: 1-line block ×6, first 2 shown]
	v_mad_u64_u32 v[52:53], null, s8, v125, 0
	v_mad_u64_u32 v[58:59], null, s8, v127, 0
	;; [unrolled: 1-line block ×3, first 2 shown]
	v_fma_f64 v[38:39], v[40:41], 2.0, -v[64:65]
	v_fma_f64 v[4:5], v[4:5], 2.0, -v[66:67]
	;; [unrolled: 1-line block ×3, first 2 shown]
	v_mad_u64_u32 v[102:103], null, s9, v122, v[61:62]
	v_fma_f64 v[40:41], v[46:47], 2.0, -v[68:69]
	v_fma_f64 v[94:95], v[64:65], s[0:1], v[62:63]
	v_mov_b32_e32 v61, v81
	v_mov_b32_e32 v81, v83
	v_fma_f64 v[46:47], v[56:57], 2.0, -v[72:73]
	v_fma_f64 v[96:97], v[72:73], s[0:1], v[68:69]
	v_mov_b32_e32 v83, v85
	v_fma_f64 v[6:7], v[6:7], 2.0, -v[74:75]
	v_add_f64 v[20:21], v[26:27], -v[20:21]
	v_mad_u64_u32 v[113:114], null, s9, v115, v[61:62]
	v_fma_f64 v[2:3], v[2:3], 2.0, -v[76:77]
	v_fma_f64 v[100:101], v[74:75], s[0:1], v[76:77]
	v_add_f64 v[8:9], v[32:33], -v[8:9]
	v_fma_f64 v[0:1], v[0:1], 2.0, -v[78:79]
	v_add_f64 v[18:19], v[14:15], -v[18:19]
	v_add_f64 v[30:31], v[12:13], -v[30:31]
	;; [unrolled: 1-line block ×6, first 2 shown]
	v_fma_f64 v[111:112], v[66:67], s[0:1], v[78:79]
	v_mov_b32_e32 v85, v87
	v_dual_mov_b32 v87, v89 :: v_dual_add_nc_u32 v126, 0x465, v122
	v_dual_mov_b32 v61, v102 :: v_dual_add_nc_u32 v124, 0x36b, v122
	s_delay_alu instid0(VALU_DEP_1)
	v_mad_u64_u32 v[50:51], null, s8, v124, 0
	v_fma_f64 v[103:104], v[38:39], s[6:7], v[34:35]
	v_fma_f64 v[66:67], v[66:67], s[6:7], v[94:95]
	;; [unrolled: 1-line block ×4, first 2 shown]
	v_fma_f64 v[26:27], v[26:27], 2.0, -v[20:21]
	v_fma_f64 v[107:108], v[6:7], s[6:7], v[2:3]
	v_fma_f64 v[32:33], v[32:33], 2.0, -v[8:9]
	v_fma_f64 v[109:110], v[4:5], s[6:7], v[0:1]
	v_fma_f64 v[14:15], v[14:15], 2.0, -v[18:19]
	v_fma_f64 v[12:13], v[12:13], 2.0, -v[30:31]
	;; [unrolled: 1-line block ×3, first 2 shown]
	v_add_f64 v[94:95], v[8:9], -v[30:31]
	v_fma_f64 v[28:29], v[28:29], 2.0, -v[44:45]
	v_add_f64 v[30:31], v[10:11], -v[44:45]
	v_fma_f64 v[44:45], v[72:73], s[0:1], v[100:101]
	v_fma_f64 v[24:25], v[24:25], 2.0, -v[36:37]
	v_fma_f64 v[42:43], v[42:43], 2.0, -v[10:11]
	v_add_f64 v[18:19], v[20:21], v[18:19]
	v_fma_f64 v[72:73], v[4:5], s[6:7], v[103:104]
	v_add_f64 v[103:104], v[36:37], v[16:17]
	v_mad_u64_u32 v[4:5], null, s9, v117, v[83:84]
	v_add_nc_u32_e32 v130, 0x659, v122
	v_mad_u64_u32 v[16:17], null, s9, v123, v[49:50]
	v_fma_f64 v[96:97], v[6:7], s[6:7], v[105:106]
	v_fma_f64 v[62:63], v[62:63], 2.0, -v[66:67]
	s_delay_alu instid0(VALU_DEP_4)
	v_mad_u64_u32 v[90:91], null, s8, v130, 0
	v_fma_f64 v[68:69], v[68:69], 2.0, -v[74:75]
	v_mov_b32_e32 v49, v16
	v_fma_f64 v[46:47], v[46:47], s[0:1], v[107:108]
	v_fma_f64 v[100:101], v[38:39], s[0:1], v[109:110]
	;; [unrolled: 1-line block ×3, first 2 shown]
	v_mov_b32_e32 v89, v91
	v_mov_b32_e32 v91, v93
	v_mad_u64_u32 v[114:115], null, s9, v116, v[81:82]
	v_dual_mov_b32 v81, v113 :: v_dual_add_nc_u32 v128, 0x55f, v122
	v_mad_u64_u32 v[56:57], null, s8, v126, 0
	v_mad_u64_u32 v[105:106], null, s9, v125, v[53:54]
	s_delay_alu instid0(VALU_DEP_4) | instskip(NEXT) | instid1(VALU_DEP_4)
	v_mov_b32_e32 v83, v114
	v_mad_u64_u32 v[70:71], null, s8, v128, 0
	v_mov_b32_e32 v93, v99
	v_mad_u64_u32 v[106:107], null, s9, v126, v[57:58]
	v_mad_u64_u32 v[107:108], null, s9, v127, v[59:60]
	;; [unrolled: 1-line block ×5, first 2 shown]
	v_mov_b32_e32 v85, v4
	v_mad_u64_u32 v[110:111], null, s9, v130, v[89:90]
	v_add_f64 v[54:55], v[32:33], -v[54:55]
	v_add_f64 v[28:29], v[26:27], -v[28:29]
	;; [unrolled: 1-line block ×4, first 2 shown]
	v_mad_u64_u32 v[6:7], null, s9, v121, v[23:24]
	v_fma_f64 v[119:120], v[34:35], 2.0, -v[72:73]
	v_fma_f64 v[34:35], v[40:41], 2.0, -v[96:97]
	;; [unrolled: 1-line block ×4, first 2 shown]
	v_mad_u64_u32 v[64:65], null, s9, v124, v[51:52]
	v_fma_f64 v[115:116], v[8:9], 2.0, -v[94:95]
	v_fma_f64 v[117:118], v[10:11], 2.0, -v[30:31]
	;; [unrolled: 1-line block ×6, first 2 shown]
	v_mad_u64_u32 v[0:1], null, s9, v131, v[91:92]
	v_mov_b32_e32 v87, v5
	v_mad_u64_u32 v[1:2], null, s9, v132, v[93:94]
	v_mov_b32_e32 v51, v64
	v_fma_f64 v[4:5], v[74:75], s[2:3], v[66:67]
	v_fma_f64 v[10:11], v[18:19], s[0:1], v[103:104]
	v_mov_b32_e32 v93, v0
	v_mov_b32_e32 v53, v105
	;; [unrolled: 1-line block ×4, first 2 shown]
	v_lshlrev_b64 v[0:1], 4, v[80:81]
	v_lshlrev_b64 v[2:3], 4, v[60:61]
	v_mov_b32_e32 v59, v107
	v_mov_b32_e32 v71, v108
	;; [unrolled: 1-line block ×5, first 2 shown]
	v_fma_f64 v[6:7], v[44:45], s[2:3], v[38:39]
	v_fma_f64 v[64:65], v[32:33], 2.0, -v[54:55]
	v_fma_f64 v[8:9], v[30:31], s[0:1], v[94:95]
	v_fma_f64 v[80:81], v[24:25], 2.0, -v[111:112]
	v_fma_f64 v[32:33], v[42:43], 2.0, -v[12:13]
	v_fma_f64 v[24:25], v[26:27], 2.0, -v[28:29]
	v_fma_f64 v[16:17], v[46:47], s[12:13], v[100:101]
	v_fma_f64 v[36:37], v[68:69], s[4:5], v[62:63]
	;; [unrolled: 1-line block ×5, first 2 shown]
	v_add_co_u32 v131, vcc_lo, v135, v2
	v_add_co_ci_u32_e32 v132, vcc_lo, v136, v3, vcc_lo
	v_fma_f64 v[60:61], v[117:118], s[6:7], v[115:116]
	v_fma_f64 v[107:108], v[20:21], s[6:7], v[123:124]
	v_add_co_u32 v133, vcc_lo, v135, v0
	v_fma_f64 v[109:110], v[76:77], s[4:5], v[78:79]
	v_lshlrev_b64 v[113:114], 4, v[22:23]
	v_add_co_ci_u32_e32 v134, vcc_lo, v136, v1, vcc_lo
	v_lshlrev_b64 v[82:83], 4, v[82:83]
	v_lshlrev_b64 v[84:85], 4, v[84:85]
	v_fma_f64 v[2:3], v[44:45], s[4:5], v[4:5]
	v_fma_f64 v[4:5], v[30:31], s[0:1], v[10:11]
	v_add_f64 v[10:11], v[54:55], -v[28:29]
	v_lshlrev_b64 v[86:87], 4, v[86:87]
	v_lshlrev_b64 v[48:49], 4, v[48:49]
	;; [unrolled: 1-line block ×10, first 2 shown]
	v_fma_f64 v[0:1], v[74:75], s[12:13], v[6:7]
	v_lshlrev_b64 v[98:99], 4, v[98:99]
	v_fma_f64 v[6:7], v[18:19], s[6:7], v[8:9]
	v_add_f64 v[8:9], v[111:112], v[12:13]
	v_add_f64 v[26:27], v[64:65], -v[32:33]
	v_add_f64 v[24:25], v[80:81], -v[24:25]
	v_fma_f64 v[12:13], v[96:97], s[2:3], v[16:17]
	v_fma_f64 v[18:19], v[76:77], s[14:15], v[36:37]
	;; [unrolled: 1-line block ×8, first 2 shown]
	v_add_co_u32 v68, vcc_lo, v135, v82
	v_add_co_ci_u32_e32 v69, vcc_lo, v136, v83, vcc_lo
	v_add_co_u32 v74, vcc_lo, v135, v84
	v_add_co_ci_u32_e32 v75, vcc_lo, v136, v85, vcc_lo
	;; [unrolled: 2-line block ×5, first 2 shown]
	v_add_co_u32 v86, vcc_lo, v135, v50
	v_fma_f64 v[42:43], v[54:55], 2.0, -v[10:11]
	v_fma_f64 v[54:55], v[64:65], 2.0, -v[26:27]
	v_fma_f64 v[52:53], v[80:81], 2.0, -v[24:25]
	v_add_co_ci_u32_e32 v87, vcc_lo, v136, v51, vcc_lo
	v_fma_f64 v[58:59], v[119:120], 2.0, -v[30:31]
	v_fma_f64 v[56:57], v[121:122], 2.0, -v[28:29]
	v_fma_f64 v[46:47], v[62:63], 2.0, -v[18:19]
	v_fma_f64 v[40:41], v[111:112], 2.0, -v[8:9]
	v_fma_f64 v[62:63], v[72:73], 2.0, -v[14:15]
	v_fma_f64 v[60:61], v[100:101], 2.0, -v[12:13]
	v_fma_f64 v[50:51], v[115:116], 2.0, -v[22:23]
	v_fma_f64 v[48:49], v[123:124], 2.0, -v[20:21]
	v_fma_f64 v[32:33], v[38:39], 2.0, -v[0:1]
	v_fma_f64 v[38:39], v[94:95], 2.0, -v[6:7]
	v_fma_f64 v[44:45], v[78:79], 2.0, -v[16:17]
	v_fma_f64 v[36:37], v[103:104], 2.0, -v[4:5]
	v_fma_f64 v[34:35], v[66:67], 2.0, -v[2:3]
	v_add_co_u32 v64, vcc_lo, v135, v125
	v_add_co_ci_u32_e32 v65, vcc_lo, v136, v126, vcc_lo
	v_add_co_u32 v66, vcc_lo, v135, v127
	v_add_co_ci_u32_e32 v67, vcc_lo, v136, v128, vcc_lo
	;; [unrolled: 2-line block ×8, first 2 shown]
	s_clause 0xf
	global_store_b128 v[131:132], v[52:55], off
	global_store_b128 v[133:134], v[56:59], off
	;; [unrolled: 1-line block ×16, first 2 shown]
.LBB0_37:
	s_nop 0
	s_sendmsg sendmsg(MSG_DEALLOC_VGPRS)
	s_endpgm
	.section	.rodata,"a",@progbits
	.p2align	6, 0x0
	.amdhsa_kernel fft_rtc_back_len2000_factors_5_5_5_16_wgs_125_tpt_125_halfLds_dp_ip_CI_sbrr_dirReg
		.amdhsa_group_segment_fixed_size 0
		.amdhsa_private_segment_fixed_size 0
		.amdhsa_kernarg_size 88
		.amdhsa_user_sgpr_count 15
		.amdhsa_user_sgpr_dispatch_ptr 0
		.amdhsa_user_sgpr_queue_ptr 0
		.amdhsa_user_sgpr_kernarg_segment_ptr 1
		.amdhsa_user_sgpr_dispatch_id 0
		.amdhsa_user_sgpr_private_segment_size 0
		.amdhsa_wavefront_size32 1
		.amdhsa_uses_dynamic_stack 0
		.amdhsa_enable_private_segment 0
		.amdhsa_system_sgpr_workgroup_id_x 1
		.amdhsa_system_sgpr_workgroup_id_y 0
		.amdhsa_system_sgpr_workgroup_id_z 0
		.amdhsa_system_sgpr_workgroup_info 0
		.amdhsa_system_vgpr_workitem_id 0
		.amdhsa_next_free_vgpr 200
		.amdhsa_next_free_sgpr 23
		.amdhsa_reserve_vcc 1
		.amdhsa_float_round_mode_32 0
		.amdhsa_float_round_mode_16_64 0
		.amdhsa_float_denorm_mode_32 3
		.amdhsa_float_denorm_mode_16_64 3
		.amdhsa_dx10_clamp 1
		.amdhsa_ieee_mode 1
		.amdhsa_fp16_overflow 0
		.amdhsa_workgroup_processor_mode 1
		.amdhsa_memory_ordered 1
		.amdhsa_forward_progress 0
		.amdhsa_shared_vgpr_count 0
		.amdhsa_exception_fp_ieee_invalid_op 0
		.amdhsa_exception_fp_denorm_src 0
		.amdhsa_exception_fp_ieee_div_zero 0
		.amdhsa_exception_fp_ieee_overflow 0
		.amdhsa_exception_fp_ieee_underflow 0
		.amdhsa_exception_fp_ieee_inexact 0
		.amdhsa_exception_int_div_zero 0
	.end_amdhsa_kernel
	.text
.Lfunc_end0:
	.size	fft_rtc_back_len2000_factors_5_5_5_16_wgs_125_tpt_125_halfLds_dp_ip_CI_sbrr_dirReg, .Lfunc_end0-fft_rtc_back_len2000_factors_5_5_5_16_wgs_125_tpt_125_halfLds_dp_ip_CI_sbrr_dirReg
                                        ; -- End function
	.section	.AMDGPU.csdata,"",@progbits
; Kernel info:
; codeLenInByte = 15524
; NumSgprs: 25
; NumVgprs: 200
; ScratchSize: 0
; MemoryBound: 1
; FloatMode: 240
; IeeeMode: 1
; LDSByteSize: 0 bytes/workgroup (compile time only)
; SGPRBlocks: 3
; VGPRBlocks: 24
; NumSGPRsForWavesPerEU: 25
; NumVGPRsForWavesPerEU: 200
; Occupancy: 7
; WaveLimiterHint : 1
; COMPUTE_PGM_RSRC2:SCRATCH_EN: 0
; COMPUTE_PGM_RSRC2:USER_SGPR: 15
; COMPUTE_PGM_RSRC2:TRAP_HANDLER: 0
; COMPUTE_PGM_RSRC2:TGID_X_EN: 1
; COMPUTE_PGM_RSRC2:TGID_Y_EN: 0
; COMPUTE_PGM_RSRC2:TGID_Z_EN: 0
; COMPUTE_PGM_RSRC2:TIDIG_COMP_CNT: 0
	.text
	.p2alignl 7, 3214868480
	.fill 96, 4, 3214868480
	.type	__hip_cuid_27dbbca352cd869b,@object ; @__hip_cuid_27dbbca352cd869b
	.section	.bss,"aw",@nobits
	.globl	__hip_cuid_27dbbca352cd869b
__hip_cuid_27dbbca352cd869b:
	.byte	0                               ; 0x0
	.size	__hip_cuid_27dbbca352cd869b, 1

	.ident	"AMD clang version 19.0.0git (https://github.com/RadeonOpenCompute/llvm-project roc-6.4.0 25133 c7fe45cf4b819c5991fe208aaa96edf142730f1d)"
	.section	".note.GNU-stack","",@progbits
	.addrsig
	.addrsig_sym __hip_cuid_27dbbca352cd869b
	.amdgpu_metadata
---
amdhsa.kernels:
  - .args:
      - .actual_access:  read_only
        .address_space:  global
        .offset:         0
        .size:           8
        .value_kind:     global_buffer
      - .offset:         8
        .size:           8
        .value_kind:     by_value
      - .actual_access:  read_only
        .address_space:  global
        .offset:         16
        .size:           8
        .value_kind:     global_buffer
      - .actual_access:  read_only
        .address_space:  global
        .offset:         24
        .size:           8
        .value_kind:     global_buffer
      - .offset:         32
        .size:           8
        .value_kind:     by_value
      - .actual_access:  read_only
        .address_space:  global
        .offset:         40
        .size:           8
        .value_kind:     global_buffer
      - .actual_access:  read_only
        .address_space:  global
        .offset:         48
        .size:           8
        .value_kind:     global_buffer
      - .offset:         56
        .size:           4
        .value_kind:     by_value
      - .actual_access:  read_only
        .address_space:  global
        .offset:         64
        .size:           8
        .value_kind:     global_buffer
      - .actual_access:  read_only
        .address_space:  global
        .offset:         72
        .size:           8
        .value_kind:     global_buffer
      - .address_space:  global
        .offset:         80
        .size:           8
        .value_kind:     global_buffer
    .group_segment_fixed_size: 0
    .kernarg_segment_align: 8
    .kernarg_segment_size: 88
    .language:       OpenCL C
    .language_version:
      - 2
      - 0
    .max_flat_workgroup_size: 125
    .name:           fft_rtc_back_len2000_factors_5_5_5_16_wgs_125_tpt_125_halfLds_dp_ip_CI_sbrr_dirReg
    .private_segment_fixed_size: 0
    .sgpr_count:     25
    .sgpr_spill_count: 0
    .symbol:         fft_rtc_back_len2000_factors_5_5_5_16_wgs_125_tpt_125_halfLds_dp_ip_CI_sbrr_dirReg.kd
    .uniform_work_group_size: 1
    .uses_dynamic_stack: false
    .vgpr_count:     200
    .vgpr_spill_count: 0
    .wavefront_size: 32
    .workgroup_processor_mode: 1
amdhsa.target:   amdgcn-amd-amdhsa--gfx1100
amdhsa.version:
  - 1
  - 2
...

	.end_amdgpu_metadata
